;; amdgpu-corpus repo=ROCm/MIOpen kind=compiled arch=gfx1030 opt=O3
	.amdgcn_target "amdgcn-amd-amdhsa--gfx1030"
	.amdhsa_code_object_version 6
	.text
	.protected	AdamContiguous          ; -- Begin function AdamContiguous
	.globl	AdamContiguous
	.p2align	8
	.type	AdamContiguous,@function
AdamContiguous:                         ; @AdamContiguous
; %bb.0:
	s_clause 0x1
	s_load_dword s0, s[4:5], 0x7c
	s_load_dwordx2 s[34:35], s[4:5], 0x68
	s_add_u32 s14, s4, 0x70
	s_addc_u32 s15, s5, 0
	s_waitcnt lgkmcnt(0)
	s_and_b32 s33, s0, 0xffff
	s_mov_b32 s0, exec_lo
	v_mad_u64_u32 v[0:1], null, s6, s33, v[0:1]
	v_mov_b32_e32 v1, 0
	v_cmpx_gt_u64_e64 s[34:35], v[0:1]
	s_cbranch_execz .LBB0_11
; %bb.1:
	s_load_dwordx8 s[24:31], s[4:5], 0x48
	s_mov_b32 s2, 0x55555555
	s_mov_b32 s3, 0x3fe55555
	;; [unrolled: 1-line block ×6, first 2 shown]
	s_waitcnt lgkmcnt(0)
	v_cvt_f64_u32_e32 v[2:3], s29
	v_cmp_neq_f32_e64 vcc_lo, s26, 1.0
	v_cmp_neq_f32_e64 s0, s25, 1.0
	v_cvt_f64_f32_e32 v[4:5], s26
	s_bitcmp1_b32 s30, 0
	s_cselect_b32 s29, -1, 0
	v_cndmask_b32_e32 v9, 0x3ff00000, v3, vcc_lo
	v_cndmask_b32_e32 v8, 0, v2, vcc_lo
	v_cndmask_b32_e64 v7, 0x3ff00000, v3, s0
	v_cndmask_b32_e64 v6, 0, v2, s0
	v_cvt_f64_f32_e32 v[2:3], s25
	v_cmp_neq_f64_e32 vcc_lo, 0, v[8:9]
	v_cmp_neq_f64_e64 s0, 0, v[6:7]
	v_cndmask_b32_e32 v5, 0x3ff00000, v5, vcc_lo
	v_cndmask_b32_e32 v4, 0, v4, vcc_lo
	v_cndmask_b32_e64 v3, 0x3ff00000, v3, s0
	v_cndmask_b32_e64 v2, 0, v2, s0
	v_frexp_mant_f64_e64 v[10:11], |v[4:5]|
	v_frexp_exp_i32_f64_e32 v14, v[4:5]
	v_frexp_mant_f64_e64 v[12:13], |v[2:3]|
	v_frexp_exp_i32_f64_e32 v15, v[2:3]
	v_cmp_class_f64_e64 s13, v[4:5], 0x204
	v_cmp_class_f64_e64 s16, v[2:3], 0x204
	v_cmp_gt_f64_e32 vcc_lo, s[2:3], v[10:11]
	v_cmp_gt_f64_e64 s0, s[2:3], v[12:13]
	v_subrev_co_ci_u32_e64 v50, null, 0, v14, vcc_lo
	v_cndmask_b32_e64 v14, 0, 1, vcc_lo
	v_subrev_co_ci_u32_e64 v51, null, 0, v15, s0
	v_cndmask_b32_e64 v15, 0, 1, s0
	s_mov_b32 s0, 0x968915a9
	v_ldexp_f64 v[10:11], v[10:11], v14
	s_mov_b32 s1, 0x3fba6564
	v_ldexp_f64 v[12:13], v[12:13], v15
	v_add_f64 v[14:15], v[10:11], 1.0
	v_add_f64 v[26:27], v[10:11], -1.0
	v_add_f64 v[16:17], v[12:13], 1.0
	v_rcp_f64_e32 v[18:19], v[14:15]
	v_add_f64 v[30:31], v[14:15], -1.0
	v_rcp_f64_e32 v[20:21], v[16:17]
	v_add_f64 v[34:35], v[16:17], -1.0
	v_add_f64 v[10:11], v[10:11], -v[30:31]
	v_fma_f64 v[22:23], -v[14:15], v[18:19], 1.0
	v_fma_f64 v[24:25], -v[16:17], v[20:21], 1.0
	v_fma_f64 v[18:19], v[22:23], v[18:19], v[18:19]
	v_fma_f64 v[20:21], v[24:25], v[20:21], v[20:21]
	v_fma_f64 v[22:23], -v[14:15], v[18:19], 1.0
	v_fma_f64 v[24:25], -v[16:17], v[20:21], 1.0
	v_fma_f64 v[18:19], v[22:23], v[18:19], v[18:19]
	v_add_f64 v[22:23], v[12:13], -1.0
	v_add_f64 v[12:13], v[12:13], -v[34:35]
	v_fma_f64 v[20:21], v[24:25], v[20:21], v[20:21]
	v_mul_f64 v[24:25], v[26:27], v[18:19]
	v_mul_f64 v[28:29], v[22:23], v[20:21]
	;; [unrolled: 1-line block ×4, first 2 shown]
	v_fma_f64 v[14:15], v[24:25], v[14:15], -v[32:33]
	v_fma_f64 v[16:17], v[28:29], v[16:17], -v[36:37]
	v_fma_f64 v[10:11], v[24:25], v[10:11], v[14:15]
	v_fma_f64 v[12:13], v[28:29], v[12:13], v[16:17]
	v_add_f64 v[14:15], v[32:33], v[10:11]
	v_add_f64 v[16:17], v[36:37], v[12:13]
	v_add_f64 v[30:31], v[26:27], -v[14:15]
	v_add_f64 v[32:33], v[14:15], -v[32:33]
	;; [unrolled: 1-line block ×10, first 2 shown]
	v_add_f64 v[10:11], v[10:11], v[14:15]
	v_add_f64 v[12:13], v[12:13], v[16:17]
	;; [unrolled: 1-line block ×4, first 2 shown]
	v_mul_f64 v[10:11], v[18:19], v[10:11]
	v_mul_f64 v[12:13], v[20:21], v[12:13]
	v_add_f64 v[14:15], v[24:25], v[10:11]
	v_add_f64 v[16:17], v[28:29], v[12:13]
	v_add_f64 v[18:19], v[14:15], -v[24:25]
	v_mul_f64 v[22:23], v[14:15], v[14:15]
	v_add_f64 v[20:21], v[16:17], -v[28:29]
	v_add_f64 v[10:11], v[10:11], -v[18:19]
	v_mul_f64 v[18:19], v[16:17], v[16:17]
	v_add_f64 v[12:13], v[12:13], -v[20:21]
	v_fma_f64 v[20:21], v[14:15], v[14:15], -v[22:23]
	v_add_f64 v[24:25], v[10:11], v[10:11]
	v_fma_f64 v[26:27], v[16:17], v[16:17], -v[18:19]
	v_add_f64 v[28:29], v[12:13], v[12:13]
	v_fma_f64 v[20:21], v[14:15], v[24:25], v[20:21]
	v_fma_f64 v[24:25], v[16:17], v[28:29], v[26:27]
	v_add_f64 v[26:27], v[22:23], v[20:21]
	v_add_f64 v[28:29], v[18:19], v[24:25]
	v_fma_f64 v[30:31], v[26:27], s[6:7], s[0:1]
	v_add_f64 v[22:23], v[26:27], -v[22:23]
	v_mul_f64 v[40:41], v[14:15], v[26:27]
	v_fma_f64 v[32:33], v[28:29], s[6:7], s[0:1]
	s_mov_b32 s0, 0x3abe935a
	s_mov_b32 s1, 0x3fbe25e4
	v_add_f64 v[18:19], v[28:29], -v[18:19]
	v_mul_f64 v[44:45], v[16:17], v[28:29]
	s_mov_b32 s6, 0x3b39803f
	s_mov_b32 s7, 0x3c7abc9e
	v_fma_f64 v[30:31], v[26:27], v[30:31], s[0:1]
	v_add_f64 v[20:21], v[20:21], -v[22:23]
	v_fma_f64 v[46:47], v[26:27], v[14:15], -v[40:41]
	v_fma_f64 v[32:33], v[28:29], v[32:33], s[0:1]
	s_mov_b32 s0, 0x47e6c9c2
	s_mov_b32 s1, 0x3fc110ef
	v_add_f64 v[18:19], v[24:25], -v[18:19]
	v_fma_f64 v[48:49], v[28:29], v[16:17], -v[44:45]
	v_fma_f64 v[30:31], v[26:27], v[30:31], s[0:1]
	v_fma_f64 v[32:33], v[28:29], v[32:33], s[0:1]
	s_mov_b32 s0, 0xcfa74449
	s_mov_b32 s1, 0x3fc3b13b
	v_fma_f64 v[30:31], v[26:27], v[30:31], s[0:1]
	v_fma_f64 v[32:33], v[28:29], v[32:33], s[0:1]
	s_mov_b32 s0, 0x71bf3c30
	s_mov_b32 s1, 0x3fc745d1
	v_fma_f64 v[30:31], v[26:27], v[30:31], s[0:1]
	v_fma_f64 v[32:33], v[28:29], v[32:33], s[0:1]
	s_mov_b32 s0, 0x1c7792ce
	s_mov_b32 s1, 0x3fcc71c7
	v_fma_f64 v[30:31], v[26:27], v[30:31], s[0:1]
	v_fma_f64 v[32:33], v[28:29], v[32:33], s[0:1]
	s_mov_b32 s0, 0x924920da
	s_mov_b32 s1, 0x3fd24924
	v_fma_f64 v[30:31], v[26:27], v[30:31], s[0:1]
	v_fma_f64 v[32:33], v[28:29], v[32:33], s[0:1]
	s_mov_b32 s0, 0x9999999c
	s_mov_b32 s1, 0x3fd99999
	v_fma_f64 v[30:31], v[26:27], v[30:31], s[0:1]
	v_fma_f64 v[32:33], v[28:29], v[32:33], s[0:1]
	s_mov_b32 s0, 0xd5df274d
	s_mov_b32 s1, 0x3c8543b0
	v_mul_f64 v[34:35], v[26:27], v[30:31]
	v_mul_f64 v[36:37], v[28:29], v[32:33]
	v_fma_f64 v[22:23], v[26:27], v[30:31], -v[34:35]
	v_fma_f64 v[26:27], v[26:27], v[10:11], v[46:47]
	v_ldexp_f64 v[10:11], v[10:11], 1
	v_fma_f64 v[24:25], v[28:29], v[32:33], -v[36:37]
	v_fma_f64 v[28:29], v[28:29], v[12:13], v[48:49]
	v_ldexp_f64 v[12:13], v[12:13], 1
	v_fma_f64 v[22:23], v[20:21], v[30:31], v[22:23]
	v_fma_f64 v[20:21], v[20:21], v[14:15], v[26:27]
	v_ldexp_f64 v[14:15], v[14:15], 1
	v_fma_f64 v[24:25], v[18:19], v[32:33], v[24:25]
	v_fma_f64 v[18:19], v[18:19], v[16:17], v[28:29]
	v_ldexp_f64 v[16:17], v[16:17], 1
	v_add_f64 v[30:31], v[34:35], v[22:23]
	v_add_f64 v[28:29], v[40:41], v[20:21]
	;; [unrolled: 1-line block ×3, first 2 shown]
	v_add_f64 v[34:35], v[30:31], -v[34:35]
	v_add_f64 v[38:39], v[30:31], s[2:3]
	v_add_f64 v[40:41], v[28:29], -v[40:41]
	v_add_f64 v[36:37], v[32:33], -v[36:37]
	v_add_f64 v[42:43], v[32:33], s[2:3]
	s_mov_b32 s3, 0xbfe55555
	v_add_f64 v[22:23], v[22:23], -v[34:35]
	v_add_f64 v[34:35], v[38:39], s[2:3]
	v_add_f64 v[20:21], v[20:21], -v[40:41]
	v_add_f64 v[24:25], v[24:25], -v[36:37]
	v_add_f64 v[36:37], v[42:43], s[2:3]
	s_mov_b32 s2, 0xfefa39ef
	s_mov_b32 s3, 0x3fe62e42
	v_add_f64 v[22:23], v[22:23], s[0:1]
	v_add_f64 v[30:31], v[30:31], -v[34:35]
	v_add_f64 v[24:25], v[24:25], s[0:1]
	v_add_f64 v[32:33], v[32:33], -v[36:37]
	v_add_f64 v[22:23], v[22:23], v[30:31]
	v_add_f64 v[24:25], v[24:25], v[32:33]
	;; [unrolled: 1-line block ×5, first 2 shown]
	v_add_f64 v[44:45], v[32:33], -v[44:45]
	v_add_f64 v[34:35], v[38:39], -v[26:27]
	v_mul_f64 v[36:37], v[28:29], v[26:27]
	v_add_f64 v[38:39], v[42:43], -v[30:31]
	v_mul_f64 v[42:43], v[32:33], v[30:31]
	v_add_f64 v[18:19], v[18:19], -v[44:45]
	v_add_f64 v[22:23], v[22:23], v[34:35]
	v_fma_f64 v[34:35], v[28:29], v[26:27], -v[36:37]
	v_add_f64 v[24:25], v[24:25], v[38:39]
	v_fma_f64 v[38:39], v[32:33], v[30:31], -v[42:43]
	v_fma_f64 v[22:23], v[28:29], v[22:23], v[34:35]
	v_fma_f64 v[24:25], v[32:33], v[24:25], v[38:39]
	v_cvt_f64_i32_e32 v[32:33], v51
	v_fma_f64 v[20:21], v[20:21], v[26:27], v[22:23]
	v_cvt_f64_i32_e32 v[26:27], v50
	v_fma_f64 v[18:19], v[18:19], v[30:31], v[24:25]
	v_add_f64 v[22:23], v[36:37], v[20:21]
	v_mul_f64 v[38:39], v[26:27], s[2:3]
	v_add_f64 v[24:25], v[42:43], v[18:19]
	v_add_f64 v[28:29], v[22:23], -v[36:37]
	v_add_f64 v[30:31], v[14:15], v[22:23]
	v_add_f64 v[34:35], v[24:25], -v[42:43]
	;; [unrolled: 2-line block ×3, first 2 shown]
	v_add_f64 v[14:15], v[30:31], -v[14:15]
	v_mul_f64 v[28:29], v[32:33], s[2:3]
	v_add_f64 v[18:19], v[18:19], -v[34:35]
	v_add_f64 v[16:17], v[36:37], -v[16:17]
	v_fma_f64 v[34:35], v[26:27], s[2:3], -v[38:39]
	v_add_f64 v[10:11], v[10:11], v[20:21]
	v_add_f64 v[14:15], v[22:23], -v[14:15]
	v_fma_f64 v[20:21], v[32:33], s[2:3], -v[28:29]
	v_add_f64 v[12:13], v[12:13], v[18:19]
	v_add_f64 v[16:17], v[24:25], -v[16:17]
	v_fma_f64 v[18:19], v[26:27], s[6:7], v[34:35]
	s_mov_b32 s3, 0xbfe62e42
	v_add_f64 v[10:11], v[10:11], v[14:15]
	v_fma_f64 v[14:15], v[32:33], s[6:7], v[20:21]
	s_mov_b32 s7, 0xbc7abc9e
	v_add_f64 v[12:13], v[12:13], v[16:17]
	v_add_f64 v[16:17], v[38:39], v[18:19]
	;; [unrolled: 1-line block ×5, first 2 shown]
	v_add_f64 v[38:39], v[16:17], -v[38:39]
	v_add_f64 v[26:27], v[16:17], v[20:21]
	v_add_f64 v[30:31], v[20:21], -v[30:31]
	v_add_f64 v[28:29], v[22:23], -v[28:29]
	v_add_f64 v[32:33], v[22:23], v[24:25]
	v_add_f64 v[36:37], v[24:25], -v[36:37]
	v_add_f64 v[18:19], v[18:19], -v[38:39]
	v_mul_f64 v[38:39], v[8:9], 0.5
	v_add_f64 v[34:35], v[26:27], -v[16:17]
	v_add_f64 v[10:11], v[10:11], -v[30:31]
	;; [unrolled: 1-line block ×7, first 2 shown]
	v_add_f64 v[28:29], v[18:19], v[10:11]
	v_add_f64 v[44:45], v[32:33], -v[40:41]
	v_add_f64 v[24:25], v[24:25], -v[40:41]
	;; [unrolled: 1-line block ×4, first 2 shown]
	v_add_f64 v[16:17], v[20:21], v[16:17]
	v_add_f64 v[20:21], v[14:15], v[12:13]
	v_add_f64 v[22:23], v[24:25], v[22:23]
	v_add_f64 v[24:25], v[28:29], -v[18:19]
	v_add_f64 v[16:17], v[28:29], v[16:17]
	v_add_f64 v[30:31], v[20:21], -v[14:15]
	v_add_f64 v[22:23], v[20:21], v[22:23]
	v_add_f64 v[28:29], v[28:29], -v[24:25]
	v_add_f64 v[10:11], v[10:11], -v[24:25]
	v_add_f64 v[34:35], v[26:27], v[16:17]
	v_add_f64 v[20:21], v[20:21], -v[30:31]
	;; [unrolled: 3-line block ×3, first 2 shown]
	v_add_f64 v[24:25], v[34:35], -v[26:27]
	v_add_f64 v[14:15], v[14:15], -v[20:21]
	;; [unrolled: 1-line block ×3, first 2 shown]
	v_add_f64 v[10:11], v[10:11], v[18:19]
	v_add_f64 v[16:17], v[16:17], -v[24:25]
	v_add_f64 v[12:13], v[12:13], v[14:15]
	v_add_f64 v[14:15], v[22:23], -v[20:21]
	v_add_f64 v[10:11], v[10:11], v[16:17]
	v_add_f64 v[12:13], v[12:13], v[14:15]
	;; [unrolled: 1-line block ×4, first 2 shown]
	v_add_f64 v[18:19], v[14:15], -v[34:35]
	v_mul_f64 v[20:21], v[8:9], v[14:15]
	v_add_f64 v[22:23], v[16:17], -v[36:37]
	v_mul_f64 v[24:25], v[6:7], v[16:17]
	v_add_f64 v[10:11], v[10:11], -v[18:19]
	v_fma_f64 v[14:15], v[8:9], v[14:15], -v[20:21]
	v_cmp_class_f64_e64 vcc_lo, v[20:21], 0x204
	v_add_f64 v[12:13], v[12:13], -v[22:23]
	v_fma_f64 v[16:17], v[6:7], v[16:17], -v[24:25]
	v_cmp_class_f64_e64 s0, v[24:25], 0x204
	v_fma_f64 v[10:11], v[8:9], v[10:11], v[14:15]
	v_fma_f64 v[12:13], v[6:7], v[12:13], v[16:17]
	v_add_f64 v[14:15], v[20:21], v[10:11]
	v_add_f64 v[16:17], v[24:25], v[12:13]
	v_cndmask_b32_e32 v19, v15, v21, vcc_lo
	v_cndmask_b32_e32 v18, v14, v20, vcc_lo
	v_add_f64 v[14:15], v[14:15], -v[20:21]
	v_cndmask_b32_e64 v23, v17, v25, s0
	v_cndmask_b32_e64 v22, v16, v24, s0
	s_mov_b32 s0, 0xfca7ab0c
	v_mul_f64 v[26:27], v[18:19], s[8:9]
	s_mov_b32 s1, 0x3e928af3
	v_add_f64 v[16:17], v[16:17], -v[24:25]
	v_mul_f64 v[28:29], v[22:23], s[8:9]
	s_load_dword s9, s[4:5], 0x60
	v_cmp_eq_f64_e32 vcc_lo, 0, v[4:5]
	v_cmp_ngt_f64_e64 s8, 0xc090cc00, v[18:19]
	v_cmp_ngt_f64_e64 s10, 0xc090cc00, v[22:23]
	v_rndne_f64_e32 v[26:27], v[26:27]
	s_waitcnt lgkmcnt(0)
	s_bitcmp1_b32 s9, 8
	v_rndne_f64_e32 v[28:29], v[28:29]
	s_cselect_b32 s30, -1, 0
	s_bitcmp1_b32 s9, 16
	v_cmp_nlt_f64_e64 s9, 0x40900000, v[22:23]
	s_cselect_b32 s11, -1, 0
	s_or_b32 s13, vcc_lo, s13
	s_xor_b32 s31, s11, -1
	s_and_b32 s17, vcc_lo, exec_lo
	s_cselect_b32 s17, 0, 0x7ff00000
	v_fma_f64 v[30:31], v[26:27], s[2:3], v[18:19]
	v_cvt_i32_f64_e32 v40, v[26:27]
	v_fma_f64 v[32:33], v[28:29], s[2:3], v[22:23]
	s_mov_b32 s2, 0x6a5dcb37
	s_mov_b32 s3, 0x3e5ade15
	v_cvt_i32_f64_e32 v41, v[28:29]
	v_fma_f64 v[30:31], v[26:27], s[6:7], v[30:31]
	v_fma_f64 v[32:33], v[28:29], s[6:7], v[32:33]
	v_cmp_nlt_f64_e64 s7, 0x40900000, v[18:19]
	v_cmp_neq_f64_e64 s6, 0x7ff00000, |v[22:23]|
	v_fma_f64 v[34:35], v[30:31], s[2:3], s[0:1]
	v_fma_f64 v[36:37], v[32:33], s[2:3], s[0:1]
	s_mov_b32 s0, 0x623fde64
	s_mov_b32 s1, 0x3ec71dee
	v_cmp_neq_f64_e64 s3, 0x7ff00000, |v[18:19]|
	v_fma_f64 v[34:35], v[30:31], v[34:35], s[0:1]
	v_fma_f64 v[36:37], v[32:33], v[36:37], s[0:1]
	s_mov_b32 s0, 0x7c89e6b0
	s_mov_b32 s1, 0x3efa0199
	v_fma_f64 v[34:35], v[30:31], v[34:35], s[0:1]
	v_fma_f64 v[36:37], v[32:33], v[36:37], s[0:1]
	s_mov_b32 s0, 0x14761f6e
	s_mov_b32 s1, 0x3f2a01a0
	;; [unrolled: 4-line block ×7, first 2 shown]
	v_fma_f64 v[34:35], v[30:31], v[34:35], s[0:1]
	v_fma_f64 v[36:37], v[32:33], v[36:37], s[0:1]
	v_cmp_eq_f64_e64 s1, 0, v[2:3]
	v_fma_f64 v[34:35], v[30:31], v[34:35], 1.0
	v_fma_f64 v[36:37], v[32:33], v[36:37], 1.0
	s_or_b32 vcc_lo, s1, s16
	v_fma_f64 v[26:27], v[30:31], v[34:35], 1.0
	v_trunc_f64_e32 v[34:35], v[38:39]
	v_mul_f64 v[30:31], v[6:7], 0.5
	v_fma_f64 v[28:29], v[32:33], v[36:37], 1.0
	v_trunc_f64_e32 v[32:33], v[8:9]
	v_ldexp_f64 v[20:21], v[26:27], v40
	v_cmp_neq_f64_e64 s2, v[34:35], v[38:39]
	v_trunc_f64_e32 v[26:27], v[6:7]
	v_ldexp_f64 v[24:25], v[28:29], v41
	v_cmp_eq_f64_e64 s0, v[32:33], v[8:9]
	v_add_f64 v[8:9], v[10:11], -v[14:15]
	v_add_f64 v[10:11], v[12:13], -v[16:17]
	v_trunc_f64_e32 v[28:29], v[30:31]
	v_cndmask_b32_e64 v2, 0x7ff00000, v21, s7
	v_cmp_eq_f64_e64 s11, v[26:27], v[6:7]
	v_cndmask_b32_e64 v4, 0x7ff00000, v25, s9
	s_and_b32 s0, s0, s2
	s_and_b32 s2, s8, s7
	v_cndmask_b32_e64 v7, 0, v9, s3
	v_cndmask_b32_e64 v6, 0, v8, s3
	;; [unrolled: 1-line block ×6, first 2 shown]
	s_and_b32 s1, s1, exec_lo
	s_cselect_b32 s3, 0, 0x7ff00000
	s_and_b32 s1, s10, s9
	v_cndmask_b32_e64 v13, 0, v4, s10
	v_cndmask_b32_e64 v12, 0, v24, s1
	v_fma_f64 v[6:7], v[10:11], v[6:7], v[10:11]
	v_cmp_class_f64_e64 s1, v[10:11], 0x204
	v_cmp_neq_f64_e64 s12, v[28:29], v[30:31]
	v_cndmask_b32_e64 v2, 0, v5, s0
	v_fma_f64 v[8:9], v[12:13], v[8:9], v[12:13]
	v_cmp_class_f64_e64 s2, v[12:13], 0x204
	v_cndmask_b32_e64 v4, 0x3ff00000, v5, s0
	s_load_dword s6, s[14:15], 0x0
	v_cndmask_b32_e64 v7, v7, v11, s1
	s_and_b32 s0, s11, s12
	v_cndmask_b32_e64 v6, v6, v10, s1
	v_cndmask_b32_e64 v5, 0, v3, s0
	;; [unrolled: 1-line block ×4, first 2 shown]
	v_bfi_b32 v10, 0x7fffffff, s17, v2
	v_bfi_b32 v4, 0x7fffffff, v7, v4
	v_cndmask_b32_e64 v8, v8, v12, s2
	v_bfi_b32 v5, 0x7fffffff, s3, v5
	v_bfi_b32 v7, 0x7fffffff, v9, v3
	v_cndmask_b32_e64 v2, v6, 0, s13
	v_cndmask_b32_e64 v3, v4, v10, s13
	v_cndmask_b32_e64 v4, v8, 0, vcc_lo
	s_clause 0x1
	s_load_dwordx16 s[8:23], s[4:5], 0x0
	s_load_dwordx2 s[2:3], s[4:5], 0x40
	v_cndmask_b32_e32 v5, v7, v5, vcc_lo
	s_waitcnt lgkmcnt(0)
	s_mul_i32 s4, s6, s33
	v_add_f64 v[2:3], -v[2:3], 1.0
	s_mov_b32 s5, 0
	v_add_f64 v[4:5], -v[4:5], 1.0
	s_lshl_b64 s[6:7], s[4:5], 2
	v_cvt_f32_f64_e32 v2, v[2:3]
	v_cvt_f32_f64_e32 v8, v[4:5]
	v_mul_f32_e32 v3, 0x4f800000, v2
	v_cmp_gt_f32_e32 vcc_lo, 0xf800000, v2
	v_div_scale_f32 v5, null, v8, v8, s24
	v_div_scale_f32 v9, s0, s24, v8, s24
	v_cndmask_b32_e32 v2, v2, v3, vcc_lo
	v_rcp_f32_e32 v3, v5
	v_sqrt_f32_e32 v4, v2
	v_fma_f32 v6, -v5, v3, 1.0
	v_add_nc_u32_e32 v7, -1, v4
	v_add_nc_u32_e32 v10, 1, v4
	v_fmac_f32_e32 v3, v6, v3
	v_fma_f32 v6, -v7, v4, v2
	v_fma_f32 v11, -v10, v4, v2
	v_mul_f32_e32 v12, v9, v3
	v_cmp_ge_f32_e64 s1, 0, v6
	v_fma_f32 v6, -v5, v12, v9
	v_cndmask_b32_e64 v4, v4, v7, s1
	v_cmp_lt_f32_e64 s1, 0, v11
	v_fmac_f32_e32 v12, v6, v3
	v_cndmask_b32_e64 v7, v4, v10, s1
	v_fma_f32 v9, -v5, v12, v9
	v_cmp_neq_f32_e64 s1, s27, 0
	v_mul_f32_e64 v4, s24, s27
	v_sub_f32_e64 v5, 1.0, s26
	v_mul_f32_e32 v6, 0x37800000, v7
	v_cndmask_b32_e32 v6, v7, v6, vcc_lo
	s_mov_b32 vcc_lo, s0
	v_sub_f32_e64 v7, 1.0, s25
	v_div_fmas_f32 v9, v9, v3, v12
	v_cmp_class_f32_e64 vcc_lo, v2, 0x260
	v_div_fixup_f32 v8, v9, v8, s24
	v_cndmask_b32_e32 v6, v6, v2, vcc_lo
	v_lshlrev_b64 v[2:3], 2, v[0:1]
	s_branch .LBB0_3
.LBB0_2:                                ;   in Loop: Header=BB0_3 Depth=1
	v_mul_f32_e32 v14, 0x4f800000, v13
	v_cmp_gt_f32_e32 vcc_lo, 0xf800000, v13
	v_cndmask_b32_e32 v13, v13, v14, vcc_lo
	v_sqrt_f32_e32 v14, v13
	v_add_nc_u32_e32 v15, -1, v14
	v_add_nc_u32_e32 v16, 1, v14
	v_fma_f32 v17, -v15, v14, v13
	v_fma_f32 v18, -v16, v14, v13
	v_cmp_ge_f32_e64 s0, 0, v17
	v_cndmask_b32_e64 v14, v14, v15, s0
	v_cmp_lt_f32_e64 s0, 0, v18
	v_cndmask_b32_e64 v14, v14, v16, s0
	v_mul_f32_e32 v15, 0x37800000, v14
	v_cndmask_b32_e32 v14, v14, v15, vcc_lo
	v_cmp_class_f32_e64 vcc_lo, v13, 0x260
	v_cndmask_b32_e32 v13, v14, v13, vcc_lo
	v_div_scale_f32 v14, null, v6, v6, v13
	v_div_scale_f32 v17, vcc_lo, v13, v6, v13
	v_rcp_f32_e32 v15, v14
	v_fma_f32 v16, -v14, v15, 1.0
	v_fmac_f32_e32 v15, v16, v15
	v_mul_f32_e32 v16, v17, v15
	v_fma_f32 v18, -v14, v16, v17
	v_fmac_f32_e32 v16, v18, v15
	v_fma_f32 v14, -v14, v16, v17
	v_mul_f32_e32 v17, v7, v12
	v_div_fmas_f32 v12, v14, v15, v16
	v_fmac_f32_e32 v17, s25, v11
	v_div_fixup_f32 v11, v12, v6, v13
	v_mul_f32_e32 v18, v8, v17
	v_add_f32_e32 v19, s28, v11
	v_add_co_u32 v11, vcc_lo, s10, v2
	v_add_co_ci_u32_e64 v12, null, s11, v3, vcc_lo
	v_div_scale_f32 v20, null, v19, v19, v18
	v_div_scale_f32 v22, vcc_lo, v18, v19, v18
	v_rcp_f32_e32 v21, v20
	v_fma_f32 v13, -v20, v21, 1.0
	v_fmac_f32_e32 v21, v13, v21
	v_add_co_u32 v13, s0, s16, v2
	v_add_co_ci_u32_e64 v14, null, s17, v3, s0
	v_mul_f32_e32 v23, v22, v21
	v_add_co_u32 v15, s0, s20, v2
	s_add_u32 s20, s20, s6
	v_add_co_ci_u32_e64 v16, null, s21, v3, s0
	v_fma_f32 v24, -v20, v23, v22
	s_addc_u32 s21, s21, s7
	s_add_u32 s16, s16, s6
	s_addc_u32 s17, s17, s7
	s_add_u32 s10, s10, s6
	v_fmac_f32_e32 v23, v24, v21
	v_add_co_u32 v0, s0, v0, s4
	s_addc_u32 s11, s11, s7
	s_add_u32 s2, s2, s6
	v_fma_f32 v20, -v20, v23, v22
	v_add_co_ci_u32_e64 v1, null, 0, v1, s0
	s_addc_u32 s3, s3, s7
	s_add_u32 s22, s22, s6
	v_div_fmas_f32 v20, v20, v21, v23
	s_addc_u32 s23, s23, s7
	s_add_u32 s18, s18, s6
	s_addc_u32 s19, s19, s7
	v_cmp_le_u64_e64 s0, s[34:35], v[0:1]
	v_div_fixup_f32 v18, v20, v19, v18
	s_add_u32 s14, s14, s6
	s_addc_u32 s15, s15, s7
	s_add_u32 s8, s8, s6
	s_addc_u32 s9, s9, s7
	v_sub_f32_e32 v9, v9, v18
	s_add_u32 s12, s12, s6
	s_addc_u32 s13, s13, s7
	s_or_b32 s5, s0, s5
	global_store_dword v[11:12], v9, off
	global_store_dword v[13:14], v17, off
	;; [unrolled: 1-line block ×3, first 2 shown]
	s_andn2_b32 exec_lo, exec_lo, s5
	s_cbranch_execz .LBB0_11
.LBB0_3:                                ; =>This Inner Loop Header: Depth=1
	v_add_co_u32 v9, vcc_lo, s12, v2
	v_add_co_ci_u32_e64 v10, null, s13, v3, vcc_lo
	global_load_dword v15, v[9:10], off
	v_add_co_u32 v9, vcc_lo, s8, v2
	v_add_co_ci_u32_e64 v10, null, s9, v3, vcc_lo
	v_add_co_u32 v11, vcc_lo, s14, v2
	v_add_co_ci_u32_e64 v12, null, s15, v3, vcc_lo
	;; [unrolled: 2-line block ×3, first 2 shown]
	global_load_dword v9, v[9:10], off
	global_load_dword v11, v[11:12], off
	;; [unrolled: 1-line block ×3, first 2 shown]
	s_andn2_b32 vcc_lo, exec_lo, s1
	s_waitcnt vmcnt(3)
	v_cndmask_b32_e64 v12, v15, -v15, s30
	s_cbranch_vccnz .LBB0_9
; %bb.4:                                ;   in Loop: Header=BB0_3 Depth=1
	s_and_b32 vcc_lo, exec_lo, s31
	s_mov_b32 s0, -1
                                        ; implicit-def: $vgpr10
	s_cbranch_vccz .LBB0_6
; %bb.5:                                ;   in Loop: Header=BB0_3 Depth=1
	s_waitcnt vmcnt(2)
	v_fma_f32 v10, s27, v9, v12
	s_mov_b32 s0, 0
.LBB0_6:                                ;   in Loop: Header=BB0_3 Depth=1
	s_andn2_b32 vcc_lo, exec_lo, s0
	s_cbranch_vccnz .LBB0_8
; %bb.7:                                ;   in Loop: Header=BB0_3 Depth=1
	s_waitcnt vmcnt(2)
	v_fma_f32 v9, -v4, v9, v9
	s_branch .LBB0_9
.LBB0_8:                                ;   in Loop: Header=BB0_3 Depth=1
	v_mov_b32_e32 v12, v10
.LBB0_9:                                ;   in Loop: Header=BB0_3 Depth=1
	v_mul_f32_e32 v10, v12, v12
	s_andn2_b32 vcc_lo, exec_lo, s29
	v_mul_f32_e32 v10, v5, v10
	s_waitcnt vmcnt(0)
	v_fmac_f32_e32 v10, s26, v13
	v_mov_b32_e32 v13, v10
	s_cbranch_vccnz .LBB0_2
; %bb.10:                               ;   in Loop: Header=BB0_3 Depth=1
	v_add_co_u32 v13, vcc_lo, s22, v2
	v_add_co_ci_u32_e64 v14, null, s23, v3, vcc_lo
	global_load_dword v13, v[13:14], off
	v_max_f32_e32 v14, v10, v10
	s_waitcnt vmcnt(0)
	v_max_f32_e32 v13, v13, v13
	v_max_f32_e32 v13, v13, v14
	v_add_co_u32 v14, vcc_lo, s2, v2
	v_add_co_ci_u32_e64 v15, null, s3, v3, vcc_lo
	global_store_dword v[14:15], v13, off
	s_branch .LBB0_2
.LBB0_11:
	s_endpgm
	.section	.rodata,"a",@progbits
	.p2align	6, 0x0
	.amdhsa_kernel AdamContiguous
		.amdhsa_group_segment_fixed_size 0
		.amdhsa_private_segment_fixed_size 0
		.amdhsa_kernarg_size 368
		.amdhsa_user_sgpr_count 6
		.amdhsa_user_sgpr_private_segment_buffer 1
		.amdhsa_user_sgpr_dispatch_ptr 0
		.amdhsa_user_sgpr_queue_ptr 0
		.amdhsa_user_sgpr_kernarg_segment_ptr 1
		.amdhsa_user_sgpr_dispatch_id 0
		.amdhsa_user_sgpr_flat_scratch_init 0
		.amdhsa_user_sgpr_private_segment_size 0
		.amdhsa_wavefront_size32 1
		.amdhsa_uses_dynamic_stack 0
		.amdhsa_system_sgpr_private_segment_wavefront_offset 0
		.amdhsa_system_sgpr_workgroup_id_x 1
		.amdhsa_system_sgpr_workgroup_id_y 0
		.amdhsa_system_sgpr_workgroup_id_z 0
		.amdhsa_system_sgpr_workgroup_info 0
		.amdhsa_system_vgpr_workitem_id 0
		.amdhsa_next_free_vgpr 52
		.amdhsa_next_free_sgpr 36
		.amdhsa_reserve_vcc 1
		.amdhsa_reserve_flat_scratch 0
		.amdhsa_float_round_mode_32 0
		.amdhsa_float_round_mode_16_64 0
		.amdhsa_float_denorm_mode_32 3
		.amdhsa_float_denorm_mode_16_64 3
		.amdhsa_dx10_clamp 1
		.amdhsa_ieee_mode 1
		.amdhsa_fp16_overflow 0
		.amdhsa_workgroup_processor_mode 1
		.amdhsa_memory_ordered 1
		.amdhsa_forward_progress 1
		.amdhsa_shared_vgpr_count 0
		.amdhsa_exception_fp_ieee_invalid_op 0
		.amdhsa_exception_fp_denorm_src 0
		.amdhsa_exception_fp_ieee_div_zero 0
		.amdhsa_exception_fp_ieee_overflow 0
		.amdhsa_exception_fp_ieee_underflow 0
		.amdhsa_exception_fp_ieee_inexact 0
		.amdhsa_exception_int_div_zero 0
	.end_amdhsa_kernel
	.text
.Lfunc_end0:
	.size	AdamContiguous, .Lfunc_end0-AdamContiguous
                                        ; -- End function
	.set AdamContiguous.num_vgpr, 52
	.set AdamContiguous.num_agpr, 0
	.set AdamContiguous.numbered_sgpr, 36
	.set AdamContiguous.num_named_barrier, 0
	.set AdamContiguous.private_seg_size, 0
	.set AdamContiguous.uses_vcc, 1
	.set AdamContiguous.uses_flat_scratch, 0
	.set AdamContiguous.has_dyn_sized_stack, 0
	.set AdamContiguous.has_recursion, 0
	.set AdamContiguous.has_indirect_call, 0
	.section	.AMDGPU.csdata,"",@progbits
; Kernel info:
; codeLenInByte = 4296
; TotalNumSgprs: 38
; NumVgprs: 52
; ScratchSize: 0
; MemoryBound: 0
; FloatMode: 240
; IeeeMode: 1
; LDSByteSize: 0 bytes/workgroup (compile time only)
; SGPRBlocks: 0
; VGPRBlocks: 6
; NumSGPRsForWavesPerEU: 38
; NumVGPRsForWavesPerEU: 52
; Occupancy: 16
; WaveLimiterHint : 0
; COMPUTE_PGM_RSRC2:SCRATCH_EN: 0
; COMPUTE_PGM_RSRC2:USER_SGPR: 6
; COMPUTE_PGM_RSRC2:TRAP_HANDLER: 0
; COMPUTE_PGM_RSRC2:TGID_X_EN: 1
; COMPUTE_PGM_RSRC2:TGID_Y_EN: 0
; COMPUTE_PGM_RSRC2:TGID_Z_EN: 0
; COMPUTE_PGM_RSRC2:TIDIG_COMP_CNT: 0
	.text
	.protected	AmpAdamContiguousWithStep ; -- Begin function AmpAdamContiguousWithStep
	.globl	AmpAdamContiguousWithStep
	.p2align	8
	.type	AmpAdamContiguousWithStep,@function
AmpAdamContiguousWithStep:              ; @AmpAdamContiguousWithStep
; %bb.0:
	s_clause 0x1
	s_load_dword s2, s[4:5], 0x94
	s_load_dwordx2 s[14:15], s[4:5], 0x80
	s_add_u32 s0, s4, 0x88
	s_addc_u32 s1, s5, 0
	s_waitcnt lgkmcnt(0)
	s_and_b32 s2, s2, 0xffff
	v_mad_u64_u32 v[1:2], null, s6, s2, v[0:1]
	v_mov_b32_e32 v2, 0
	s_mov_b32 s2, exec_lo
	v_cmpx_gt_u64_e64 s[14:15], v[1:2]
	s_cbranch_execz .LBB1_34
; %bb.1:
	s_clause 0x2
	s_load_dwordx2 s[34:35], s[4:5], 0x78
	s_load_dwordx8 s[36:43], s[4:5], 0x40
	s_load_dwordx16 s[16:31], s[4:5], 0x0
	s_load_dword s56, s[0:1], 0x0
	s_waitcnt lgkmcnt(0)
	s_bitcmp1_b32 s35, 0
	s_cselect_b32 s33, -1, 0
	s_cmp_eq_u64 s[42:43], 0
	s_cselect_b32 s2, -1, 0
	s_and_b32 vcc_lo, exec_lo, s2
	s_cbranch_vccnz .LBB1_17
; %bb.2:
	v_mov_b32_e32 v2, 0
	global_load_ubyte v1, v2, s[42:43]
	s_waitcnt vmcnt(0)
	v_cmp_ne_u32_e32 vcc_lo, 0, v1
	s_cbranch_vccz .LBB1_33
; %bb.3:
	s_cmp_lt_u32 s6, s56
	s_mov_b32 s7, exec_lo
	s_cselect_b32 s2, 12, 18
	s_add_u32 s2, s0, s2
	s_addc_u32 s3, s1, 0
	global_load_ushort v5, v2, s[2:3]
	s_waitcnt vmcnt(0)
	v_mad_u64_u32 v[3:4], null, s6, v5, v[0:1]
	v_readfirstlane_b32 s2, v5
	v_mov_b32_e32 v1, v3
	v_cmpx_gt_u64_e64 s[14:15], v[1:2]
	s_cbranch_execz .LBB1_16
; %bb.4:
	s_cmp_lg_u64 s[16:17], s[18:19]
	v_lshlrev_b64 v[5:6], 1, v[1:2]
	s_cselect_b32 s35, -1, 0
	s_cmp_lg_u64 s[20:21], 0
	v_lshlrev_b64 v[3:4], 2, v[1:2]
	s_cselect_b32 s57, -1, 0
	s_cmp_lg_u64 s[24:25], s[26:27]
	v_add_co_u32 v5, vcc_lo, s20, v5
	s_cselect_b32 s58, -1, 0
	s_cmp_lg_u64 s[28:29], s[30:31]
	v_add_co_ci_u32_e64 v6, null, s21, v6, vcc_lo
	s_cselect_b32 s59, -1, 0
	s_cmp_lg_u64 s[36:37], s[38:39]
	s_mul_i32 s2, s56, s2
	s_mov_b32 s3, 0
	s_cselect_b32 s12, -1, 0
	s_lshl_b64 s[8:9], s[2:3], 2
	s_lshl_b64 s[10:11], s[2:3], 1
	s_and_b32 s60, s12, s33
	s_mov_b64 s[12:13], s[38:39]
	s_mov_b64 s[42:43], s[36:37]
	s_mov_b64 s[44:45], s[30:31]
	s_mov_b64 s[46:47], s[28:29]
	s_mov_b64 s[48:49], s[26:27]
	s_mov_b64 s[50:51], s[24:25]
	s_mov_b64 s[52:53], s[18:19]
	s_mov_b64 s[54:55], s[16:17]
	s_branch .LBB1_6
.LBB1_5:                                ;   in Loop: Header=BB1_6 Depth=1
	s_add_u32 s54, s54, s8
	s_addc_u32 s55, s55, s9
	s_add_u32 s52, s52, s8
	v_add_co_u32 v1, vcc_lo, v1, s2
	s_addc_u32 s53, s53, s9
	s_add_u32 s50, s50, s8
	v_add_co_ci_u32_e64 v2, null, 0, v2, vcc_lo
	s_addc_u32 s51, s51, s9
	s_add_u32 s48, s48, s8
	s_addc_u32 s49, s49, s9
	v_add_co_u32 v5, vcc_lo, v5, s10
	s_add_u32 s46, s46, s8
	s_addc_u32 s47, s47, s9
	v_add_co_ci_u32_e64 v6, null, s11, v6, vcc_lo
	s_add_u32 s44, s44, s8
	v_cmp_le_u64_e32 vcc_lo, s[14:15], v[1:2]
	s_addc_u32 s45, s45, s9
	s_add_u32 s42, s42, s8
	s_addc_u32 s43, s43, s9
	s_add_u32 s12, s12, s8
	s_addc_u32 s13, s13, s9
	s_or_b32 s3, vcc_lo, s3
	s_andn2_b32 exec_lo, exec_lo, s3
	s_cbranch_execz .LBB1_16
.LBB1_6:                                ; =>This Inner Loop Header: Depth=1
	s_andn2_b32 vcc_lo, exec_lo, s35
	s_cbranch_vccnz .LBB1_8
; %bb.7:                                ;   in Loop: Header=BB1_6 Depth=1
	v_add_co_u32 v7, vcc_lo, s54, v3
	v_add_co_ci_u32_e64 v8, null, s55, v4, vcc_lo
	global_load_dword v9, v[7:8], off
	v_add_co_u32 v7, vcc_lo, s52, v3
	v_add_co_ci_u32_e64 v8, null, s53, v4, vcc_lo
	s_waitcnt vmcnt(0)
	global_store_dword v[7:8], v9, off
.LBB1_8:                                ;   in Loop: Header=BB1_6 Depth=1
	s_andn2_b32 vcc_lo, exec_lo, s57
	s_cbranch_vccnz .LBB1_10
; %bb.9:                                ;   in Loop: Header=BB1_6 Depth=1
	v_add_co_u32 v7, vcc_lo, s54, v3
	v_add_co_ci_u32_e64 v8, null, s55, v4, vcc_lo
	global_load_dword v7, v[7:8], off
	s_waitcnt vmcnt(0)
	v_cvt_f16_f32_e32 v7, v7
	global_store_short v[5:6], v7, off
.LBB1_10:                               ;   in Loop: Header=BB1_6 Depth=1
	s_andn2_b32 vcc_lo, exec_lo, s58
	s_cbranch_vccnz .LBB1_12
; %bb.11:                               ;   in Loop: Header=BB1_6 Depth=1
	v_add_co_u32 v7, vcc_lo, s50, v3
	v_add_co_ci_u32_e64 v8, null, s51, v4, vcc_lo
	global_load_dword v9, v[7:8], off
	v_add_co_u32 v7, vcc_lo, s48, v3
	v_add_co_ci_u32_e64 v8, null, s49, v4, vcc_lo
	s_waitcnt vmcnt(0)
	global_store_dword v[7:8], v9, off
.LBB1_12:                               ;   in Loop: Header=BB1_6 Depth=1
	s_andn2_b32 vcc_lo, exec_lo, s59
	s_cbranch_vccnz .LBB1_14
; %bb.13:                               ;   in Loop: Header=BB1_6 Depth=1
	v_add_co_u32 v7, vcc_lo, s46, v3
	v_add_co_ci_u32_e64 v8, null, s47, v4, vcc_lo
	global_load_dword v9, v[7:8], off
	v_add_co_u32 v7, vcc_lo, s44, v3
	v_add_co_ci_u32_e64 v8, null, s45, v4, vcc_lo
	s_waitcnt vmcnt(0)
	global_store_dword v[7:8], v9, off
.LBB1_14:                               ;   in Loop: Header=BB1_6 Depth=1
	s_andn2_b32 vcc_lo, exec_lo, s60
	s_cbranch_vccnz .LBB1_5
; %bb.15:                               ;   in Loop: Header=BB1_6 Depth=1
	v_add_co_u32 v7, vcc_lo, s42, v3
	v_add_co_ci_u32_e64 v8, null, s43, v4, vcc_lo
	global_load_dword v9, v[7:8], off
	v_add_co_u32 v7, vcc_lo, s12, v3
	v_add_co_ci_u32_e64 v8, null, s13, v4, vcc_lo
	s_waitcnt vmcnt(0)
	global_store_dword v[7:8], v9, off
	s_branch .LBB1_5
.LBB1_16:
	s_or_b32 exec_lo, exec_lo, s7
	s_mov_b32 s2, 0
.LBB1_17:
	s_and_b32 vcc_lo, exec_lo, s2
	s_cbranch_vccz .LBB1_34
.LBB1_18:
	s_load_dwordx2 s[2:3], s[4:5], 0x60
	s_cmp_lt_u32 s6, s56
	v_mov_b32_e32 v1, 0
	s_cselect_b32 s7, 12, 18
	v_mov_b32_e32 v10, 1.0
	s_add_u32 s0, s0, s7
	s_addc_u32 s1, s1, 0
	s_cmp_eq_u64 s[40:41], 0
	global_load_ushort v3, v1, s[0:1]
	s_waitcnt lgkmcnt(0)
	global_load_dword v2, v1, s[2:3]
	s_cselect_b32 s0, -1, 0
	s_and_b32 vcc_lo, exec_lo, s0
	s_waitcnt vmcnt(1)
	v_readfirstlane_b32 s1, v3
	s_cbranch_vccnz .LBB1_20
; %bb.19:
	global_load_dword v3, v1, s[40:41]
	s_waitcnt vmcnt(0)
	v_cvt_f32_i32_e32 v10, v3
.LBB1_20:
	s_and_b32 s13, 0xffff, s1
	v_mad_u64_u32 v[3:4], null, s6, s13, v[0:1]
	v_mov_b32_e32 v0, v3
	v_cmp_gt_u64_e32 vcc_lo, s[14:15], v[0:1]
	s_and_b32 exec_lo, exec_lo, vcc_lo
	s_cbranch_execz .LBB1_34
; %bb.21:
	s_waitcnt vmcnt(0)
	v_add_nc_u32_e32 v2, 1, v2
	s_clause 0x1
	s_load_dwordx4 s[40:43], s[4:5], 0x68
	s_load_dword s8, s[4:5], 0x7c
	s_mov_b32 s2, 0x55555555
	s_mov_b32 s3, 0x3fe55555
	v_cvt_f64_u32_e32 v[2:3], v2
	s_mov_b32 s4, 0x968915a9
	s_mov_b32 s6, 0x4222de17
	;; [unrolled: 1-line block ×4, first 2 shown]
	s_waitcnt lgkmcnt(0)
	v_cmp_neq_f32_e64 vcc_lo, s42, 1.0
	v_cmp_neq_f32_e64 s1, s41, 1.0
	v_cvt_f64_f32_e32 v[4:5], s42
	s_bitcmp1_b32 s8, 8
	s_cselect_b32 s35, -1, 0
	v_cndmask_b32_e32 v9, 0x3ff00000, v3, vcc_lo
	v_cndmask_b32_e32 v8, 0, v2, vcc_lo
	v_cndmask_b32_e64 v7, 0x3ff00000, v3, s1
	v_cndmask_b32_e64 v6, 0, v2, s1
	v_cvt_f64_f32_e32 v[2:3], s41
	s_bitcmp1_b32 s8, 16
	v_cmp_neq_f64_e32 vcc_lo, 0, v[8:9]
	s_cselect_b32 s10, -1, 0
	v_cmp_neq_f64_e64 s1, 0, v[6:7]
	s_xor_b32 s44, s10, -1
	v_cndmask_b32_e32 v5, 0x3ff00000, v5, vcc_lo
	v_cndmask_b32_e32 v4, 0, v4, vcc_lo
	v_cndmask_b32_e64 v3, 0x3ff00000, v3, s1
	v_cndmask_b32_e64 v2, 0, v2, s1
	v_frexp_mant_f64_e64 v[11:12], |v[4:5]|
	v_frexp_exp_i32_f64_e32 v15, v[4:5]
	v_frexp_mant_f64_e64 v[13:14], |v[2:3]|
	v_frexp_exp_i32_f64_e32 v16, v[2:3]
	v_cmp_class_f64_e64 s12, v[4:5], 0x204
	v_cmp_class_f64_e64 s45, v[2:3], 0x204
	v_cmp_gt_f64_e32 vcc_lo, s[2:3], v[11:12]
	v_cmp_gt_f64_e64 s1, s[2:3], v[13:14]
	v_subrev_co_ci_u32_e64 v51, null, 0, v15, vcc_lo
	v_cndmask_b32_e64 v15, 0, 1, vcc_lo
	v_subrev_co_ci_u32_e64 v52, null, 0, v16, s1
	v_cndmask_b32_e64 v16, 0, 1, s1
	v_ldexp_f64 v[11:12], v[11:12], v15
	v_ldexp_f64 v[13:14], v[13:14], v16
	v_add_f64 v[15:16], v[11:12], 1.0
	v_add_f64 v[27:28], v[11:12], -1.0
	v_add_f64 v[17:18], v[13:14], 1.0
	v_rcp_f64_e32 v[19:20], v[15:16]
	v_add_f64 v[31:32], v[15:16], -1.0
	v_rcp_f64_e32 v[21:22], v[17:18]
	v_add_f64 v[35:36], v[17:18], -1.0
	v_add_f64 v[11:12], v[11:12], -v[31:32]
	v_fma_f64 v[23:24], -v[15:16], v[19:20], 1.0
	v_fma_f64 v[25:26], -v[17:18], v[21:22], 1.0
	v_fma_f64 v[19:20], v[23:24], v[19:20], v[19:20]
	v_fma_f64 v[21:22], v[25:26], v[21:22], v[21:22]
	v_fma_f64 v[23:24], -v[15:16], v[19:20], 1.0
	v_fma_f64 v[25:26], -v[17:18], v[21:22], 1.0
	v_fma_f64 v[19:20], v[23:24], v[19:20], v[19:20]
	v_add_f64 v[23:24], v[13:14], -1.0
	v_add_f64 v[13:14], v[13:14], -v[35:36]
	v_fma_f64 v[21:22], v[25:26], v[21:22], v[21:22]
	v_mul_f64 v[25:26], v[27:28], v[19:20]
	v_mul_f64 v[29:30], v[23:24], v[21:22]
	;; [unrolled: 1-line block ×4, first 2 shown]
	v_fma_f64 v[15:16], v[25:26], v[15:16], -v[33:34]
	v_fma_f64 v[17:18], v[29:30], v[17:18], -v[37:38]
	v_fma_f64 v[11:12], v[25:26], v[11:12], v[15:16]
	v_fma_f64 v[13:14], v[29:30], v[13:14], v[17:18]
	v_add_f64 v[15:16], v[33:34], v[11:12]
	v_add_f64 v[17:18], v[37:38], v[13:14]
	v_add_f64 v[31:32], v[27:28], -v[15:16]
	v_add_f64 v[33:34], v[15:16], -v[33:34]
	;; [unrolled: 1-line block ×10, first 2 shown]
	v_add_f64 v[11:12], v[11:12], v[15:16]
	v_add_f64 v[13:14], v[13:14], v[17:18]
	;; [unrolled: 1-line block ×4, first 2 shown]
	v_mul_f64 v[11:12], v[19:20], v[11:12]
	v_mul_f64 v[13:14], v[21:22], v[13:14]
	v_add_f64 v[15:16], v[25:26], v[11:12]
	v_add_f64 v[17:18], v[29:30], v[13:14]
	v_add_f64 v[19:20], v[15:16], -v[25:26]
	v_mul_f64 v[23:24], v[15:16], v[15:16]
	v_add_f64 v[21:22], v[17:18], -v[29:30]
	v_add_f64 v[11:12], v[11:12], -v[19:20]
	v_mul_f64 v[19:20], v[17:18], v[17:18]
	v_add_f64 v[13:14], v[13:14], -v[21:22]
	v_fma_f64 v[21:22], v[15:16], v[15:16], -v[23:24]
	v_add_f64 v[25:26], v[11:12], v[11:12]
	v_fma_f64 v[27:28], v[17:18], v[17:18], -v[19:20]
	v_add_f64 v[29:30], v[13:14], v[13:14]
	v_fma_f64 v[21:22], v[15:16], v[25:26], v[21:22]
	v_fma_f64 v[25:26], v[17:18], v[29:30], v[27:28]
	v_add_f64 v[27:28], v[23:24], v[21:22]
	v_add_f64 v[29:30], v[19:20], v[25:26]
	v_fma_f64 v[31:32], v[27:28], s[6:7], s[4:5]
	v_add_f64 v[23:24], v[27:28], -v[23:24]
	v_mul_f64 v[41:42], v[15:16], v[27:28]
	v_fma_f64 v[33:34], v[29:30], s[6:7], s[4:5]
	s_mov_b32 s4, 0x3abe935a
	s_mov_b32 s5, 0x3fbe25e4
	v_add_f64 v[19:20], v[29:30], -v[19:20]
	v_mul_f64 v[45:46], v[17:18], v[29:30]
	s_mov_b32 s6, 0x652b82fe
	s_mov_b32 s7, 0x3ff71547
	v_fma_f64 v[31:32], v[27:28], v[31:32], s[4:5]
	v_add_f64 v[21:22], v[21:22], -v[23:24]
	v_fma_f64 v[47:48], v[27:28], v[15:16], -v[41:42]
	v_fma_f64 v[33:34], v[29:30], v[33:34], s[4:5]
	s_mov_b32 s4, 0x47e6c9c2
	s_mov_b32 s5, 0x3fc110ef
	v_add_f64 v[19:20], v[25:26], -v[19:20]
	v_fma_f64 v[49:50], v[29:30], v[17:18], -v[45:46]
	v_fma_f64 v[31:32], v[27:28], v[31:32], s[4:5]
	v_fma_f64 v[33:34], v[29:30], v[33:34], s[4:5]
	s_mov_b32 s4, 0xcfa74449
	s_mov_b32 s5, 0x3fc3b13b
	v_fma_f64 v[31:32], v[27:28], v[31:32], s[4:5]
	v_fma_f64 v[33:34], v[29:30], v[33:34], s[4:5]
	s_mov_b32 s4, 0x71bf3c30
	s_mov_b32 s5, 0x3fc745d1
	v_fma_f64 v[31:32], v[27:28], v[31:32], s[4:5]
	v_fma_f64 v[33:34], v[29:30], v[33:34], s[4:5]
	s_mov_b32 s4, 0x1c7792ce
	s_mov_b32 s5, 0x3fcc71c7
	v_fma_f64 v[31:32], v[27:28], v[31:32], s[4:5]
	v_fma_f64 v[33:34], v[29:30], v[33:34], s[4:5]
	s_mov_b32 s4, 0x924920da
	s_mov_b32 s5, 0x3fd24924
	v_fma_f64 v[31:32], v[27:28], v[31:32], s[4:5]
	v_fma_f64 v[33:34], v[29:30], v[33:34], s[4:5]
	s_mov_b32 s4, 0x9999999c
	s_mov_b32 s5, 0x3fd99999
	v_fma_f64 v[31:32], v[27:28], v[31:32], s[4:5]
	v_fma_f64 v[33:34], v[29:30], v[33:34], s[4:5]
	s_mov_b32 s4, 0x3b39803f
	s_mov_b32 s5, 0x3c7abc9e
	v_mul_f64 v[35:36], v[27:28], v[31:32]
	v_mul_f64 v[37:38], v[29:30], v[33:34]
	v_fma_f64 v[23:24], v[27:28], v[31:32], -v[35:36]
	v_fma_f64 v[27:28], v[27:28], v[11:12], v[47:48]
	v_ldexp_f64 v[11:12], v[11:12], 1
	v_fma_f64 v[25:26], v[29:30], v[33:34], -v[37:38]
	v_fma_f64 v[29:30], v[29:30], v[13:14], v[49:50]
	v_ldexp_f64 v[13:14], v[13:14], 1
	v_fma_f64 v[23:24], v[21:22], v[31:32], v[23:24]
	v_fma_f64 v[21:22], v[21:22], v[15:16], v[27:28]
	v_ldexp_f64 v[15:16], v[15:16], 1
	v_fma_f64 v[25:26], v[19:20], v[33:34], v[25:26]
	v_fma_f64 v[19:20], v[19:20], v[17:18], v[29:30]
	v_ldexp_f64 v[17:18], v[17:18], 1
	v_add_f64 v[31:32], v[35:36], v[23:24]
	v_add_f64 v[29:30], v[41:42], v[21:22]
	;; [unrolled: 1-line block ×3, first 2 shown]
	v_add_f64 v[35:36], v[31:32], -v[35:36]
	v_add_f64 v[39:40], v[31:32], s[2:3]
	v_add_f64 v[41:42], v[29:30], -v[41:42]
	v_add_f64 v[37:38], v[33:34], -v[37:38]
	v_add_f64 v[43:44], v[33:34], s[2:3]
	s_mov_b32 s3, 0xbfe55555
	v_add_f64 v[23:24], v[23:24], -v[35:36]
	v_add_f64 v[35:36], v[39:40], s[2:3]
	v_add_f64 v[21:22], v[21:22], -v[41:42]
	v_add_f64 v[25:26], v[25:26], -v[37:38]
	v_add_f64 v[37:38], v[43:44], s[2:3]
	s_mov_b32 s2, 0xd5df274d
	s_mov_b32 s3, 0x3c8543b0
	v_add_f64 v[23:24], v[23:24], s[2:3]
	v_add_f64 v[31:32], v[31:32], -v[35:36]
	v_add_f64 v[25:26], v[25:26], s[2:3]
	v_add_f64 v[33:34], v[33:34], -v[37:38]
	s_mov_b32 s2, 0xfefa39ef
	s_mov_b32 s3, 0x3fe62e42
	v_add_f64 v[23:24], v[23:24], v[31:32]
	v_add_f64 v[25:26], v[25:26], v[33:34]
	;; [unrolled: 1-line block ×5, first 2 shown]
	v_add_f64 v[45:46], v[33:34], -v[45:46]
	v_add_f64 v[35:36], v[39:40], -v[27:28]
	v_mul_f64 v[37:38], v[29:30], v[27:28]
	v_add_f64 v[39:40], v[43:44], -v[31:32]
	v_mul_f64 v[43:44], v[33:34], v[31:32]
	v_add_f64 v[19:20], v[19:20], -v[45:46]
	v_add_f64 v[23:24], v[23:24], v[35:36]
	v_fma_f64 v[35:36], v[29:30], v[27:28], -v[37:38]
	v_add_f64 v[25:26], v[25:26], v[39:40]
	v_fma_f64 v[39:40], v[33:34], v[31:32], -v[43:44]
	v_fma_f64 v[23:24], v[29:30], v[23:24], v[35:36]
	v_fma_f64 v[25:26], v[33:34], v[25:26], v[39:40]
	v_cvt_f64_i32_e32 v[33:34], v52
	v_fma_f64 v[21:22], v[21:22], v[27:28], v[23:24]
	v_cvt_f64_i32_e32 v[27:28], v51
	v_fma_f64 v[19:20], v[19:20], v[31:32], v[25:26]
	v_add_f64 v[23:24], v[37:38], v[21:22]
	v_mul_f64 v[39:40], v[27:28], s[2:3]
	v_add_f64 v[25:26], v[43:44], v[19:20]
	v_add_f64 v[29:30], v[23:24], -v[37:38]
	v_add_f64 v[31:32], v[15:16], v[23:24]
	v_add_f64 v[35:36], v[25:26], -v[43:44]
	v_add_f64 v[37:38], v[17:18], v[25:26]
	v_add_f64 v[21:22], v[21:22], -v[29:30]
	v_add_f64 v[15:16], v[31:32], -v[15:16]
	v_mul_f64 v[29:30], v[33:34], s[2:3]
	v_add_f64 v[19:20], v[19:20], -v[35:36]
	v_add_f64 v[17:18], v[37:38], -v[17:18]
	v_fma_f64 v[35:36], v[27:28], s[2:3], -v[39:40]
	v_add_f64 v[11:12], v[11:12], v[21:22]
	v_add_f64 v[15:16], v[23:24], -v[15:16]
	v_fma_f64 v[21:22], v[33:34], s[2:3], -v[29:30]
	v_add_f64 v[13:14], v[13:14], v[19:20]
	v_add_f64 v[17:18], v[25:26], -v[17:18]
	v_fma_f64 v[19:20], v[27:28], s[4:5], v[35:36]
	s_mov_b32 s3, 0xbfe62e42
	v_add_f64 v[11:12], v[11:12], v[15:16]
	v_fma_f64 v[15:16], v[33:34], s[4:5], v[21:22]
	s_mov_b32 s5, 0xbc7abc9e
	v_add_f64 v[13:14], v[13:14], v[17:18]
	v_add_f64 v[17:18], v[39:40], v[19:20]
	;; [unrolled: 1-line block ×5, first 2 shown]
	v_add_f64 v[39:40], v[17:18], -v[39:40]
	v_add_f64 v[27:28], v[17:18], v[21:22]
	v_add_f64 v[31:32], v[21:22], -v[31:32]
	v_add_f64 v[29:30], v[23:24], -v[29:30]
	v_add_f64 v[33:34], v[23:24], v[25:26]
	v_add_f64 v[37:38], v[25:26], -v[37:38]
	v_add_f64 v[19:20], v[19:20], -v[39:40]
	v_mul_f64 v[39:40], v[8:9], 0.5
	v_add_f64 v[35:36], v[27:28], -v[17:18]
	v_add_f64 v[11:12], v[11:12], -v[31:32]
	;; [unrolled: 1-line block ×7, first 2 shown]
	v_add_f64 v[29:30], v[19:20], v[11:12]
	v_add_f64 v[45:46], v[33:34], -v[41:42]
	v_add_f64 v[25:26], v[25:26], -v[41:42]
	;; [unrolled: 1-line block ×4, first 2 shown]
	v_add_f64 v[17:18], v[21:22], v[17:18]
	v_add_f64 v[21:22], v[15:16], v[13:14]
	;; [unrolled: 1-line block ×3, first 2 shown]
	v_add_f64 v[25:26], v[29:30], -v[19:20]
	v_add_f64 v[17:18], v[29:30], v[17:18]
	v_add_f64 v[31:32], v[21:22], -v[15:16]
	v_add_f64 v[23:24], v[21:22], v[23:24]
	v_add_f64 v[29:30], v[29:30], -v[25:26]
	v_add_f64 v[11:12], v[11:12], -v[25:26]
	v_add_f64 v[35:36], v[27:28], v[17:18]
	v_add_f64 v[21:22], v[21:22], -v[31:32]
	;; [unrolled: 3-line block ×3, first 2 shown]
	v_add_f64 v[25:26], v[35:36], -v[27:28]
	v_add_f64 v[15:16], v[15:16], -v[21:22]
	;; [unrolled: 1-line block ×3, first 2 shown]
	v_add_f64 v[11:12], v[11:12], v[19:20]
	v_add_f64 v[17:18], v[17:18], -v[25:26]
	v_add_f64 v[13:14], v[13:14], v[15:16]
	v_add_f64 v[15:16], v[23:24], -v[21:22]
	v_add_f64 v[11:12], v[11:12], v[17:18]
	v_add_f64 v[13:14], v[13:14], v[15:16]
	;; [unrolled: 1-line block ×4, first 2 shown]
	v_add_f64 v[19:20], v[15:16], -v[35:36]
	v_mul_f64 v[21:22], v[8:9], v[15:16]
	v_add_f64 v[23:24], v[17:18], -v[37:38]
	v_mul_f64 v[25:26], v[6:7], v[17:18]
	v_add_f64 v[11:12], v[11:12], -v[19:20]
	v_fma_f64 v[15:16], v[8:9], v[15:16], -v[21:22]
	v_cmp_class_f64_e64 vcc_lo, v[21:22], 0x204
	v_add_f64 v[13:14], v[13:14], -v[23:24]
	v_fma_f64 v[17:18], v[6:7], v[17:18], -v[25:26]
	v_cmp_class_f64_e64 s1, v[25:26], 0x204
	v_fma_f64 v[11:12], v[8:9], v[11:12], v[15:16]
	v_fma_f64 v[13:14], v[6:7], v[13:14], v[17:18]
	v_add_f64 v[15:16], v[21:22], v[11:12]
	v_add_f64 v[17:18], v[25:26], v[13:14]
	v_cndmask_b32_e32 v20, v16, v22, vcc_lo
	v_cndmask_b32_e32 v19, v15, v21, vcc_lo
	v_add_f64 v[15:16], v[15:16], -v[21:22]
	v_cndmask_b32_e64 v24, v18, v26, s1
	v_cndmask_b32_e64 v23, v17, v25, s1
	v_add_f64 v[17:18], v[17:18], -v[25:26]
	v_mul_f64 v[27:28], v[19:20], s[6:7]
	v_cmp_eq_f64_e32 vcc_lo, 0, v[4:5]
	v_mul_f64 v[29:30], v[23:24], s[6:7]
	v_cmp_nlt_f64_e64 s6, 0x40900000, v[19:20]
	v_cmp_ngt_f64_e64 s7, 0xc090cc00, v[19:20]
	v_cmp_nlt_f64_e64 s8, 0x40900000, v[23:24]
	v_cmp_ngt_f64_e64 s9, 0xc090cc00, v[23:24]
	v_rndne_f64_e32 v[27:28], v[27:28]
	s_or_b32 s12, vcc_lo, s12
	s_and_b32 s46, vcc_lo, exec_lo
	v_rndne_f64_e32 v[29:30], v[29:30]
	s_cselect_b32 s46, 0, 0x7ff00000
	v_fma_f64 v[31:32], v[27:28], s[2:3], v[19:20]
	v_cvt_i32_f64_e32 v41, v[27:28]
	v_fma_f64 v[33:34], v[29:30], s[2:3], v[23:24]
	s_mov_b32 s2, 0xfca7ab0c
	s_mov_b32 s3, 0x3e928af3
	v_cvt_i32_f64_e32 v42, v[29:30]
	v_fma_f64 v[31:32], v[27:28], s[4:5], v[31:32]
	v_fma_f64 v[33:34], v[29:30], s[4:5], v[33:34]
	s_mov_b32 s4, 0x6a5dcb37
	s_mov_b32 s5, 0x3e5ade15
	v_fma_f64 v[35:36], v[31:32], s[4:5], s[2:3]
	v_fma_f64 v[37:38], v[33:34], s[4:5], s[2:3]
	s_mov_b32 s2, 0x623fde64
	s_mov_b32 s3, 0x3ec71dee
	v_cmp_neq_f64_e64 s4, 0x7ff00000, |v[19:20]|
	v_cmp_neq_f64_e64 s5, 0x7ff00000, |v[23:24]|
	v_fma_f64 v[35:36], v[31:32], v[35:36], s[2:3]
	v_fma_f64 v[37:38], v[33:34], v[37:38], s[2:3]
	s_mov_b32 s2, 0x7c89e6b0
	s_mov_b32 s3, 0x3efa0199
	v_fma_f64 v[35:36], v[31:32], v[35:36], s[2:3]
	v_fma_f64 v[37:38], v[33:34], v[37:38], s[2:3]
	s_mov_b32 s2, 0x14761f6e
	s_mov_b32 s3, 0x3f2a01a0
	;; [unrolled: 4-line block ×7, first 2 shown]
	v_fma_f64 v[35:36], v[31:32], v[35:36], s[2:3]
	v_fma_f64 v[37:38], v[33:34], v[37:38], s[2:3]
	v_cmp_eq_f64_e64 s2, 0, v[2:3]
	v_fma_f64 v[35:36], v[31:32], v[35:36], 1.0
	v_fma_f64 v[37:38], v[33:34], v[37:38], 1.0
	s_or_b32 vcc_lo, s2, s45
	v_fma_f64 v[27:28], v[31:32], v[35:36], 1.0
	v_trunc_f64_e32 v[35:36], v[39:40]
	v_mul_f64 v[31:32], v[6:7], 0.5
	v_fma_f64 v[29:30], v[33:34], v[37:38], 1.0
	v_trunc_f64_e32 v[33:34], v[8:9]
	v_ldexp_f64 v[21:22], v[27:28], v41
	v_cmp_neq_f64_e64 s3, v[35:36], v[39:40]
	v_trunc_f64_e32 v[27:28], v[6:7]
	v_ldexp_f64 v[25:26], v[29:30], v42
	v_cmp_eq_f64_e64 s1, v[33:34], v[8:9]
	v_add_f64 v[8:9], v[11:12], -v[15:16]
	v_add_f64 v[11:12], v[13:14], -v[17:18]
	v_trunc_f64_e32 v[29:30], v[31:32]
	v_cndmask_b32_e64 v2, 0x7ff00000, v22, s6
	v_cmp_eq_f64_e64 s10, v[27:28], v[6:7]
	v_cndmask_b32_e64 v4, 0x7ff00000, v26, s8
	s_and_b32 s1, s1, s3
	s_and_b32 s3, s7, s6
	v_cndmask_b32_e64 v7, 0, v9, s4
	v_cndmask_b32_e64 v6, 0, v8, s4
	;; [unrolled: 1-line block ×6, first 2 shown]
	s_and_b32 s2, s2, exec_lo
	s_cselect_b32 s4, 0, 0x7ff00000
	s_and_b32 s2, s9, s8
	v_cndmask_b32_e64 v14, 0, v4, s9
	v_cndmask_b32_e64 v13, 0, v25, s2
	v_fma_f64 v[6:7], v[11:12], v[6:7], v[11:12]
	v_cmp_class_f64_e64 s2, v[11:12], 0x204
	v_cmp_neq_f64_e64 s11, v[29:30], v[31:32]
	v_cndmask_b32_e64 v2, 0, v5, s1
	v_fma_f64 v[8:9], v[13:14], v[8:9], v[13:14]
	v_cmp_class_f64_e64 s3, v[13:14], 0x204
	v_cndmask_b32_e64 v4, 0x3ff00000, v5, s1
	v_cmp_neq_f32_e64 s8, s43, 0
	s_mov_b32 s5, 0
	v_cndmask_b32_e64 v7, v7, v12, s2
	s_and_b32 s1, s10, s11
	v_cndmask_b32_e64 v6, v6, v11, s2
	v_cndmask_b32_e64 v5, 0, v3, s1
	;; [unrolled: 1-line block ×4, first 2 shown]
	v_bfi_b32 v11, 0x7fffffff, s46, v2
	v_bfi_b32 v4, 0x7fffffff, v7, v4
	v_cndmask_b32_e64 v8, v8, v13, s3
	v_bfi_b32 v5, 0x7fffffff, s4, v5
	v_bfi_b32 v7, 0x7fffffff, v9, v3
	v_cndmask_b32_e64 v2, v6, 0, s12
	v_cndmask_b32_e64 v3, v4, v11, s12
	v_cndmask_b32_e64 v4, v8, 0, vcc_lo
	s_mul_i32 s4, s56, s13
	v_cndmask_b32_e32 v5, v7, v5, vcc_lo
	s_cmp_lg_u64 s[20:21], 0
	v_add_f64 v[2:3], -v[2:3], 1.0
	s_cselect_b32 s9, -1, 0
	s_lshl_b64 s[6:7], s[4:5], 1
	v_add_f64 v[4:5], -v[4:5], 1.0
	v_cvt_f32_f64_e32 v2, v[2:3]
	v_cvt_f32_f64_e32 v6, v[4:5]
	v_mul_f32_e32 v3, 0x4f800000, v2
	v_cmp_gt_f32_e32 vcc_lo, 0xf800000, v2
	v_div_scale_f32 v7, null, v6, v6, s40
	v_div_scale_f32 v9, s1, s40, v6, s40
	v_cndmask_b32_e32 v12, v2, v3, vcc_lo
	v_rcp_f32_e32 v11, v7
	v_sqrt_f32_e32 v2, v12
	v_fma_f32 v3, -v7, v11, 1.0
	v_add_nc_u32_e32 v4, -1, v2
	v_add_nc_u32_e32 v5, 1, v2
	v_fmac_f32_e32 v11, v3, v11
	v_fma_f32 v3, -v4, v2, v12
	v_fma_f32 v8, -v5, v2, v12
	v_mul_f32_e32 v13, v9, v11
	v_cmp_ge_f32_e64 s2, 0, v3
	v_cndmask_b32_e64 v2, v2, v4, s2
	v_cmp_lt_f32_e64 s2, 0, v8
	v_fma_f32 v4, -v7, v13, v9
	v_mul_f32_e64 v8, s40, s43
	v_cndmask_b32_e64 v14, v2, v5, s2
	v_fmac_f32_e32 v13, v4, v11
	v_lshlrev_b64 v[4:5], 1, v[0:1]
	v_lshlrev_b64 v[2:3], 2, v[0:1]
	s_lshl_b64 s[2:3], s[4:5], 2
	v_mul_f32_e32 v15, 0x37800000, v14
	v_fma_f32 v7, -v7, v13, v9
	v_sub_f32_e64 v9, 1.0, s42
	v_cndmask_b32_e32 v14, v14, v15, vcc_lo
	s_mov_b32 vcc_lo, s1
	v_div_fmas_f32 v7, v7, v11, v13
	v_cmp_class_f32_e64 vcc_lo, v12, 0x260
	v_sub_f32_e64 v11, 1.0, s41
	v_div_fixup_f32 v13, v7, v6, s40
	v_cndmask_b32_e32 v12, v14, v12, vcc_lo
	v_add_co_u32 v4, vcc_lo, s20, v4
	v_add_co_ci_u32_e64 v5, null, s21, v5, vcc_lo
	s_branch .LBB1_23
.LBB1_22:                               ;   in Loop: Header=BB1_23 Depth=1
	s_add_u32 s22, s22, s2
	s_addc_u32 s23, s23, s3
	s_add_u32 s16, s16, s2
	s_addc_u32 s17, s17, s3
	s_add_u32 s24, s24, s2
	v_add_co_u32 v0, vcc_lo, v0, s4
	s_addc_u32 s25, s25, s3
	s_add_u32 s28, s28, s2
	v_add_co_ci_u32_e64 v1, null, 0, v1, vcc_lo
	s_addc_u32 s29, s29, s3
	s_add_u32 s36, s36, s2
	s_addc_u32 s37, s37, s3
	s_add_u32 s38, s38, s2
	;; [unrolled: 2-line block ×3, first 2 shown]
	v_cmp_le_u64_e32 vcc_lo, s[14:15], v[0:1]
	s_addc_u32 s19, s19, s3
	v_add_co_u32 v4, s1, v4, s6
	s_add_u32 s26, s26, s2
	s_addc_u32 s27, s27, s3
	v_add_co_ci_u32_e64 v5, null, s7, v5, s1
	s_add_u32 s30, s30, s2
	s_addc_u32 s31, s31, s3
	s_or_b32 s5, vcc_lo, s5
	s_andn2_b32 exec_lo, exec_lo, s5
	s_cbranch_execz .LBB1_34
.LBB1_23:                               ; =>This Inner Loop Header: Depth=1
	v_add_co_u32 v6, vcc_lo, s22, v2
	v_add_co_ci_u32_e64 v7, null, s23, v3, vcc_lo
	global_load_dword v19, v[6:7], off
	v_add_co_u32 v6, vcc_lo, s16, v2
	v_add_co_ci_u32_e64 v7, null, s17, v3, vcc_lo
	v_add_co_u32 v15, vcc_lo, s24, v2
	v_add_co_ci_u32_e64 v16, null, s25, v3, vcc_lo
	;; [unrolled: 2-line block ×3, first 2 shown]
	global_load_dword v14, v[6:7], off
	global_load_dword v6, v[15:16], off
	global_load_dword v16, v[17:18], off
	s_waitcnt vmcnt(3)
	v_div_scale_f32 v7, null, v10, v10, v19
	v_rcp_f32_e32 v15, v7
	v_fma_f32 v17, -v7, v15, 1.0
	v_fmac_f32_e32 v15, v17, v15
	v_div_scale_f32 v17, vcc_lo, v19, v10, v19
	v_mul_f32_e32 v18, v17, v15
	v_fma_f32 v20, -v7, v18, v17
	v_fmac_f32_e32 v18, v20, v15
	v_fma_f32 v7, -v7, v18, v17
	v_div_fmas_f32 v7, v7, v15, v18
	s_andn2_b32 vcc_lo, exec_lo, s8
	v_div_fixup_f32 v7, v7, v10, v19
	v_cndmask_b32_e64 v7, v7, v19, s0
	v_cndmask_b32_e64 v7, v7, -v7, s35
	s_cbranch_vccnz .LBB1_29
; %bb.24:                               ;   in Loop: Header=BB1_23 Depth=1
	s_and_b32 vcc_lo, exec_lo, s44
	s_mov_b32 s1, -1
                                        ; implicit-def: $vgpr15
	s_cbranch_vccz .LBB1_26
; %bb.25:                               ;   in Loop: Header=BB1_23 Depth=1
	s_waitcnt vmcnt(2)
	v_fma_f32 v15, s43, v14, v7
	s_mov_b32 s1, 0
.LBB1_26:                               ;   in Loop: Header=BB1_23 Depth=1
	s_andn2_b32 vcc_lo, exec_lo, s1
	s_cbranch_vccnz .LBB1_28
; %bb.27:                               ;   in Loop: Header=BB1_23 Depth=1
	s_waitcnt vmcnt(2)
	v_fma_f32 v14, -v8, v14, v14
	s_branch .LBB1_29
.LBB1_28:                               ;   in Loop: Header=BB1_23 Depth=1
	v_mov_b32_e32 v7, v15
.LBB1_29:                               ;   in Loop: Header=BB1_23 Depth=1
	v_mul_f32_e32 v15, v7, v7
	s_andn2_b32 vcc_lo, exec_lo, s33
	v_mul_f32_e32 v15, v9, v15
	s_waitcnt vmcnt(0)
	v_fmac_f32_e32 v15, s42, v16
	v_mov_b32_e32 v16, v15
	s_cbranch_vccnz .LBB1_31
; %bb.30:                               ;   in Loop: Header=BB1_23 Depth=1
	v_add_co_u32 v16, vcc_lo, s36, v2
	v_add_co_ci_u32_e64 v17, null, s37, v3, vcc_lo
	global_load_dword v16, v[16:17], off
	v_max_f32_e32 v17, v15, v15
	s_waitcnt vmcnt(0)
	v_max_f32_e32 v16, v16, v16
	v_max_f32_e32 v16, v16, v17
	v_add_co_u32 v17, vcc_lo, s38, v2
	v_add_co_ci_u32_e64 v18, null, s39, v3, vcc_lo
	global_store_dword v[17:18], v16, off
.LBB1_31:                               ;   in Loop: Header=BB1_23 Depth=1
	v_mul_f32_e32 v17, 0x4f800000, v16
	v_cmp_gt_f32_e32 vcc_lo, 0xf800000, v16
	v_cndmask_b32_e32 v16, v16, v17, vcc_lo
	v_sqrt_f32_e32 v17, v16
	v_add_nc_u32_e32 v18, -1, v17
	v_add_nc_u32_e32 v19, 1, v17
	v_fma_f32 v20, -v18, v17, v16
	v_fma_f32 v21, -v19, v17, v16
	v_cmp_ge_f32_e64 s1, 0, v20
	v_cndmask_b32_e64 v17, v17, v18, s1
	v_cmp_lt_f32_e64 s1, 0, v21
	v_cndmask_b32_e64 v17, v17, v19, s1
	v_mul_f32_e32 v18, 0x37800000, v17
	v_cndmask_b32_e32 v17, v17, v18, vcc_lo
	v_cmp_class_f32_e64 vcc_lo, v16, 0x260
	v_cndmask_b32_e32 v16, v17, v16, vcc_lo
	v_div_scale_f32 v17, null, v12, v12, v16
	v_div_scale_f32 v20, vcc_lo, v16, v12, v16
	v_rcp_f32_e32 v18, v17
	v_fma_f32 v19, -v17, v18, 1.0
	v_fmac_f32_e32 v18, v19, v18
	v_mul_f32_e32 v19, v20, v18
	v_fma_f32 v21, -v17, v19, v20
	v_fmac_f32_e32 v19, v21, v18
	v_fma_f32 v17, -v17, v19, v20
	v_mul_f32_e32 v20, v11, v7
	v_div_fmas_f32 v7, v17, v18, v19
	v_fmac_f32_e32 v20, s41, v6
	v_div_fixup_f32 v6, v7, v12, v16
	v_mul_f32_e32 v16, v13, v20
	v_add_f32_e32 v17, s34, v6
	v_div_scale_f32 v6, null, v17, v17, v16
	v_div_scale_f32 v19, vcc_lo, v16, v17, v16
	v_rcp_f32_e32 v7, v6
	v_fma_f32 v18, -v6, v7, 1.0
	v_fmac_f32_e32 v7, v18, v7
	v_mul_f32_e32 v18, v19, v7
	v_fma_f32 v21, -v6, v18, v19
	v_fmac_f32_e32 v18, v21, v7
	v_fma_f32 v6, -v6, v18, v19
	v_div_fmas_f32 v18, v6, v7, v18
	v_add_co_u32 v6, vcc_lo, s18, v2
	v_add_co_ci_u32_e64 v7, null, s19, v3, vcc_lo
	v_div_fixup_f32 v18, v18, v17, v16
	v_add_co_u32 v16, vcc_lo, s26, v2
	v_add_co_ci_u32_e64 v17, null, s27, v3, vcc_lo
	v_sub_f32_e32 v14, v14, v18
	v_add_co_u32 v18, vcc_lo, s30, v2
	v_add_co_ci_u32_e64 v19, null, s31, v3, vcc_lo
	s_andn2_b32 vcc_lo, exec_lo, s9
	global_store_dword v[6:7], v14, off
	global_store_dword v[16:17], v20, off
	global_store_dword v[18:19], v15, off
	s_cbranch_vccnz .LBB1_22
; %bb.32:                               ;   in Loop: Header=BB1_23 Depth=1
	global_load_dword v6, v[6:7], off
	s_waitcnt vmcnt(0)
	v_cvt_f16_f32_e32 v6, v6
	global_store_short v[4:5], v6, off
	s_branch .LBB1_22
.LBB1_33:
	s_cbranch_execnz .LBB1_18
.LBB1_34:
	s_endpgm
	.section	.rodata,"a",@progbits
	.p2align	6, 0x0
	.amdhsa_kernel AmpAdamContiguousWithStep
		.amdhsa_group_segment_fixed_size 0
		.amdhsa_private_segment_fixed_size 0
		.amdhsa_kernarg_size 392
		.amdhsa_user_sgpr_count 6
		.amdhsa_user_sgpr_private_segment_buffer 1
		.amdhsa_user_sgpr_dispatch_ptr 0
		.amdhsa_user_sgpr_queue_ptr 0
		.amdhsa_user_sgpr_kernarg_segment_ptr 1
		.amdhsa_user_sgpr_dispatch_id 0
		.amdhsa_user_sgpr_flat_scratch_init 0
		.amdhsa_user_sgpr_private_segment_size 0
		.amdhsa_wavefront_size32 1
		.amdhsa_uses_dynamic_stack 0
		.amdhsa_system_sgpr_private_segment_wavefront_offset 0
		.amdhsa_system_sgpr_workgroup_id_x 1
		.amdhsa_system_sgpr_workgroup_id_y 0
		.amdhsa_system_sgpr_workgroup_id_z 0
		.amdhsa_system_sgpr_workgroup_info 0
		.amdhsa_system_vgpr_workitem_id 0
		.amdhsa_next_free_vgpr 53
		.amdhsa_next_free_sgpr 61
		.amdhsa_reserve_vcc 1
		.amdhsa_reserve_flat_scratch 0
		.amdhsa_float_round_mode_32 0
		.amdhsa_float_round_mode_16_64 0
		.amdhsa_float_denorm_mode_32 3
		.amdhsa_float_denorm_mode_16_64 3
		.amdhsa_dx10_clamp 1
		.amdhsa_ieee_mode 1
		.amdhsa_fp16_overflow 0
		.amdhsa_workgroup_processor_mode 1
		.amdhsa_memory_ordered 1
		.amdhsa_forward_progress 1
		.amdhsa_shared_vgpr_count 0
		.amdhsa_exception_fp_ieee_invalid_op 0
		.amdhsa_exception_fp_denorm_src 0
		.amdhsa_exception_fp_ieee_div_zero 0
		.amdhsa_exception_fp_ieee_overflow 0
		.amdhsa_exception_fp_ieee_underflow 0
		.amdhsa_exception_fp_ieee_inexact 0
		.amdhsa_exception_int_div_zero 0
	.end_amdhsa_kernel
	.text
.Lfunc_end1:
	.size	AmpAdamContiguousWithStep, .Lfunc_end1-AmpAdamContiguousWithStep
                                        ; -- End function
	.set AmpAdamContiguousWithStep.num_vgpr, 53
	.set AmpAdamContiguousWithStep.num_agpr, 0
	.set AmpAdamContiguousWithStep.numbered_sgpr, 61
	.set AmpAdamContiguousWithStep.num_named_barrier, 0
	.set AmpAdamContiguousWithStep.private_seg_size, 0
	.set AmpAdamContiguousWithStep.uses_vcc, 1
	.set AmpAdamContiguousWithStep.uses_flat_scratch, 0
	.set AmpAdamContiguousWithStep.has_dyn_sized_stack, 0
	.set AmpAdamContiguousWithStep.has_recursion, 0
	.set AmpAdamContiguousWithStep.has_indirect_call, 0
	.section	.AMDGPU.csdata,"",@progbits
; Kernel info:
; codeLenInByte = 5248
; TotalNumSgprs: 63
; NumVgprs: 53
; ScratchSize: 0
; MemoryBound: 0
; FloatMode: 240
; IeeeMode: 1
; LDSByteSize: 0 bytes/workgroup (compile time only)
; SGPRBlocks: 0
; VGPRBlocks: 6
; NumSGPRsForWavesPerEU: 63
; NumVGPRsForWavesPerEU: 53
; Occupancy: 16
; WaveLimiterHint : 0
; COMPUTE_PGM_RSRC2:SCRATCH_EN: 0
; COMPUTE_PGM_RSRC2:USER_SGPR: 6
; COMPUTE_PGM_RSRC2:TRAP_HANDLER: 0
; COMPUTE_PGM_RSRC2:TGID_X_EN: 1
; COMPUTE_PGM_RSRC2:TGID_Y_EN: 0
; COMPUTE_PGM_RSRC2:TGID_Z_EN: 0
; COMPUTE_PGM_RSRC2:TIDIG_COMP_CNT: 0
	.text
	.protected	AmpAdamContiguous       ; -- Begin function AmpAdamContiguous
	.globl	AmpAdamContiguous
	.p2align	8
	.type	AmpAdamContiguous,@function
AmpAdamContiguous:                      ; @AmpAdamContiguous
; %bb.0:
	s_clause 0x1
	s_load_dword s2, s[4:5], 0x94
	s_load_dwordx2 s[34:35], s[4:5], 0x80
	s_add_u32 s0, s4, 0x88
	s_addc_u32 s1, s5, 0
	s_waitcnt lgkmcnt(0)
	s_and_b32 s2, s2, 0xffff
	v_mad_u64_u32 v[1:2], null, s6, s2, v[0:1]
	v_mov_b32_e32 v2, 0
	s_mov_b32 s2, exec_lo
	v_cmpx_gt_u64_e64 s[34:35], v[1:2]
	s_cbranch_execz .LBB2_34
; %bb.1:
	s_clause 0x2
	s_load_dwordx4 s[44:47], s[4:5], 0x70
	s_load_dwordx8 s[36:43], s[4:5], 0x40
	s_load_dwordx16 s[16:31], s[4:5], 0x0
	s_load_dword s56, s[0:1], 0x0
	s_waitcnt lgkmcnt(0)
	s_bitcmp1_b32 s46, 0
	s_cselect_b32 s33, -1, 0
	s_cmp_eq_u64 s[42:43], 0
	s_cselect_b32 s2, -1, 0
	s_and_b32 vcc_lo, exec_lo, s2
	s_cbranch_vccnz .LBB2_17
; %bb.2:
	v_mov_b32_e32 v2, 0
	global_load_ubyte v1, v2, s[42:43]
	s_waitcnt vmcnt(0)
	v_cmp_ne_u32_e32 vcc_lo, 0, v1
	s_cbranch_vccz .LBB2_33
; %bb.3:
	s_cmp_lt_u32 s6, s56
	s_mov_b32 s7, exec_lo
	s_cselect_b32 s2, 12, 18
	s_add_u32 s2, s0, s2
	s_addc_u32 s3, s1, 0
	global_load_ushort v5, v2, s[2:3]
	s_waitcnt vmcnt(0)
	v_mad_u64_u32 v[3:4], null, s6, v5, v[0:1]
	v_readfirstlane_b32 s2, v5
	v_mov_b32_e32 v1, v3
	v_cmpx_gt_u64_e64 s[34:35], v[1:2]
	s_cbranch_execz .LBB2_16
; %bb.4:
	s_cmp_lg_u64 s[16:17], s[18:19]
	v_lshlrev_b64 v[5:6], 1, v[1:2]
	s_cselect_b32 s57, -1, 0
	s_cmp_lg_u64 s[20:21], 0
	v_lshlrev_b64 v[3:4], 2, v[1:2]
	s_cselect_b32 s58, -1, 0
	s_cmp_lg_u64 s[24:25], s[26:27]
	v_add_co_u32 v5, vcc_lo, s20, v5
	s_cselect_b32 s59, -1, 0
	s_cmp_lg_u64 s[28:29], s[30:31]
	v_add_co_ci_u32_e64 v6, null, s21, v6, vcc_lo
	s_cselect_b32 s60, -1, 0
	s_cmp_lg_u64 s[36:37], s[38:39]
	s_mul_i32 s2, s56, s2
	s_mov_b32 s3, 0
	s_cselect_b32 s12, -1, 0
	s_lshl_b64 s[8:9], s[2:3], 2
	s_lshl_b64 s[10:11], s[2:3], 1
	s_and_b32 s61, s12, s33
	s_mov_b64 s[12:13], s[38:39]
	s_mov_b64 s[14:15], s[36:37]
	;; [unrolled: 1-line block ×8, first 2 shown]
	s_branch .LBB2_6
.LBB2_5:                                ;   in Loop: Header=BB2_6 Depth=1
	s_add_u32 s54, s54, s8
	s_addc_u32 s55, s55, s9
	s_add_u32 s52, s52, s8
	v_add_co_u32 v1, vcc_lo, v1, s2
	s_addc_u32 s53, s53, s9
	s_add_u32 s50, s50, s8
	v_add_co_ci_u32_e64 v2, null, 0, v2, vcc_lo
	s_addc_u32 s51, s51, s9
	s_add_u32 s48, s48, s8
	s_addc_u32 s49, s49, s9
	v_add_co_u32 v5, vcc_lo, v5, s10
	s_add_u32 s46, s46, s8
	s_addc_u32 s47, s47, s9
	v_add_co_ci_u32_e64 v6, null, s11, v6, vcc_lo
	s_add_u32 s42, s42, s8
	v_cmp_le_u64_e32 vcc_lo, s[34:35], v[1:2]
	s_addc_u32 s43, s43, s9
	s_add_u32 s14, s14, s8
	s_addc_u32 s15, s15, s9
	s_add_u32 s12, s12, s8
	s_addc_u32 s13, s13, s9
	s_or_b32 s3, vcc_lo, s3
	s_andn2_b32 exec_lo, exec_lo, s3
	s_cbranch_execz .LBB2_16
.LBB2_6:                                ; =>This Inner Loop Header: Depth=1
	s_andn2_b32 vcc_lo, exec_lo, s57
	s_cbranch_vccnz .LBB2_8
; %bb.7:                                ;   in Loop: Header=BB2_6 Depth=1
	v_add_co_u32 v7, vcc_lo, s54, v3
	v_add_co_ci_u32_e64 v8, null, s55, v4, vcc_lo
	global_load_dword v9, v[7:8], off
	v_add_co_u32 v7, vcc_lo, s52, v3
	v_add_co_ci_u32_e64 v8, null, s53, v4, vcc_lo
	s_waitcnt vmcnt(0)
	global_store_dword v[7:8], v9, off
.LBB2_8:                                ;   in Loop: Header=BB2_6 Depth=1
	s_andn2_b32 vcc_lo, exec_lo, s58
	s_cbranch_vccnz .LBB2_10
; %bb.9:                                ;   in Loop: Header=BB2_6 Depth=1
	v_add_co_u32 v7, vcc_lo, s54, v3
	v_add_co_ci_u32_e64 v8, null, s55, v4, vcc_lo
	global_load_dword v7, v[7:8], off
	s_waitcnt vmcnt(0)
	v_cvt_f16_f32_e32 v7, v7
	global_store_short v[5:6], v7, off
.LBB2_10:                               ;   in Loop: Header=BB2_6 Depth=1
	s_andn2_b32 vcc_lo, exec_lo, s59
	s_cbranch_vccnz .LBB2_12
; %bb.11:                               ;   in Loop: Header=BB2_6 Depth=1
	v_add_co_u32 v7, vcc_lo, s50, v3
	v_add_co_ci_u32_e64 v8, null, s51, v4, vcc_lo
	global_load_dword v9, v[7:8], off
	v_add_co_u32 v7, vcc_lo, s48, v3
	v_add_co_ci_u32_e64 v8, null, s49, v4, vcc_lo
	s_waitcnt vmcnt(0)
	global_store_dword v[7:8], v9, off
.LBB2_12:                               ;   in Loop: Header=BB2_6 Depth=1
	s_andn2_b32 vcc_lo, exec_lo, s60
	s_cbranch_vccnz .LBB2_14
; %bb.13:                               ;   in Loop: Header=BB2_6 Depth=1
	v_add_co_u32 v7, vcc_lo, s46, v3
	v_add_co_ci_u32_e64 v8, null, s47, v4, vcc_lo
	global_load_dword v9, v[7:8], off
	v_add_co_u32 v7, vcc_lo, s42, v3
	v_add_co_ci_u32_e64 v8, null, s43, v4, vcc_lo
	s_waitcnt vmcnt(0)
	global_store_dword v[7:8], v9, off
.LBB2_14:                               ;   in Loop: Header=BB2_6 Depth=1
	s_andn2_b32 vcc_lo, exec_lo, s61
	s_cbranch_vccnz .LBB2_5
; %bb.15:                               ;   in Loop: Header=BB2_6 Depth=1
	v_add_co_u32 v7, vcc_lo, s14, v3
	v_add_co_ci_u32_e64 v8, null, s15, v4, vcc_lo
	global_load_dword v9, v[7:8], off
	v_add_co_u32 v7, vcc_lo, s12, v3
	v_add_co_ci_u32_e64 v8, null, s13, v4, vcc_lo
	s_waitcnt vmcnt(0)
	global_store_dword v[7:8], v9, off
	s_branch .LBB2_5
.LBB2_16:
	s_or_b32 exec_lo, exec_lo, s7
	s_mov_b32 s2, 0
.LBB2_17:
	s_and_b32 vcc_lo, exec_lo, s2
	s_cbranch_vccz .LBB2_34
.LBB2_18:
	s_cmp_lt_u32 s6, s56
	v_mov_b32_e32 v1, 0
	s_cselect_b32 s2, 12, 18
	v_mov_b32_e32 v10, 1.0
	s_add_u32 s0, s0, s2
	s_addc_u32 s1, s1, 0
	s_cmp_eq_u64 s[40:41], 0
	global_load_ushort v2, v1, s[0:1]
	s_cselect_b32 s0, -1, 0
	s_and_b32 vcc_lo, exec_lo, s0
	s_waitcnt vmcnt(0)
	v_readfirstlane_b32 s1, v2
	s_cbranch_vccnz .LBB2_20
; %bb.19:
	global_load_dword v2, v1, s[40:41]
	s_waitcnt vmcnt(0)
	v_cvt_f32_i32_e32 v10, v2
.LBB2_20:
	s_and_b32 s40, 0xffff, s1
	v_mad_u64_u32 v[2:3], null, s6, s40, v[0:1]
	v_mov_b32_e32 v0, v2
	v_cmp_gt_u64_e32 vcc_lo, s[34:35], v[0:1]
	s_and_b32 exec_lo, exec_lo, vcc_lo
	s_cbranch_execz .LBB2_34
; %bb.21:
	s_clause 0x1
	s_load_dwordx4 s[12:15], s[4:5], 0x60
	s_load_dword s8, s[4:5], 0x78
	s_mov_b32 s2, 0x55555555
	s_mov_b32 s3, 0x3fe55555
	;; [unrolled: 1-line block ×6, first 2 shown]
	s_waitcnt lgkmcnt(0)
	v_cvt_f64_u32_e32 v[2:3], s12
	v_cmp_neq_f32_e64 vcc_lo, s15, 1.0
	v_cmp_neq_f32_e64 s1, s14, 1.0
	v_cvt_f64_f32_e32 v[4:5], s15
	s_bitcmp1_b32 s8, 8
	s_cselect_b32 s41, -1, 0
	s_bitcmp1_b32 s8, 16
	s_cselect_b32 s10, -1, 0
	s_xor_b32 s42, s10, -1
	v_cndmask_b32_e32 v9, 0x3ff00000, v3, vcc_lo
	v_cndmask_b32_e32 v8, 0, v2, vcc_lo
	v_cndmask_b32_e64 v7, 0x3ff00000, v3, s1
	v_cndmask_b32_e64 v6, 0, v2, s1
	v_cvt_f64_f32_e32 v[2:3], s14
	v_cmp_neq_f64_e32 vcc_lo, 0, v[8:9]
	v_cmp_neq_f64_e64 s1, 0, v[6:7]
	v_cndmask_b32_e32 v5, 0x3ff00000, v5, vcc_lo
	v_cndmask_b32_e32 v4, 0, v4, vcc_lo
	v_cndmask_b32_e64 v3, 0x3ff00000, v3, s1
	v_cndmask_b32_e64 v2, 0, v2, s1
	v_frexp_mant_f64_e64 v[11:12], |v[4:5]|
	v_frexp_exp_i32_f64_e32 v15, v[4:5]
	v_frexp_mant_f64_e64 v[13:14], |v[2:3]|
	v_frexp_exp_i32_f64_e32 v16, v[2:3]
	v_cmp_class_f64_e64 s12, v[4:5], 0x204
	v_cmp_class_f64_e64 s43, v[2:3], 0x204
	v_cmp_gt_f64_e32 vcc_lo, s[2:3], v[11:12]
	v_cmp_gt_f64_e64 s1, s[2:3], v[13:14]
	v_subrev_co_ci_u32_e64 v51, null, 0, v15, vcc_lo
	v_cndmask_b32_e64 v15, 0, 1, vcc_lo
	v_subrev_co_ci_u32_e64 v52, null, 0, v16, s1
	v_cndmask_b32_e64 v16, 0, 1, s1
	v_ldexp_f64 v[11:12], v[11:12], v15
	v_ldexp_f64 v[13:14], v[13:14], v16
	v_add_f64 v[15:16], v[11:12], 1.0
	v_add_f64 v[27:28], v[11:12], -1.0
	v_add_f64 v[17:18], v[13:14], 1.0
	v_rcp_f64_e32 v[19:20], v[15:16]
	v_add_f64 v[31:32], v[15:16], -1.0
	v_rcp_f64_e32 v[21:22], v[17:18]
	v_add_f64 v[35:36], v[17:18], -1.0
	v_add_f64 v[11:12], v[11:12], -v[31:32]
	v_fma_f64 v[23:24], -v[15:16], v[19:20], 1.0
	v_fma_f64 v[25:26], -v[17:18], v[21:22], 1.0
	v_fma_f64 v[19:20], v[23:24], v[19:20], v[19:20]
	v_fma_f64 v[21:22], v[25:26], v[21:22], v[21:22]
	v_fma_f64 v[23:24], -v[15:16], v[19:20], 1.0
	v_fma_f64 v[25:26], -v[17:18], v[21:22], 1.0
	v_fma_f64 v[19:20], v[23:24], v[19:20], v[19:20]
	v_add_f64 v[23:24], v[13:14], -1.0
	v_add_f64 v[13:14], v[13:14], -v[35:36]
	v_fma_f64 v[21:22], v[25:26], v[21:22], v[21:22]
	v_mul_f64 v[25:26], v[27:28], v[19:20]
	v_mul_f64 v[29:30], v[23:24], v[21:22]
	;; [unrolled: 1-line block ×4, first 2 shown]
	v_fma_f64 v[15:16], v[25:26], v[15:16], -v[33:34]
	v_fma_f64 v[17:18], v[29:30], v[17:18], -v[37:38]
	v_fma_f64 v[11:12], v[25:26], v[11:12], v[15:16]
	v_fma_f64 v[13:14], v[29:30], v[13:14], v[17:18]
	v_add_f64 v[15:16], v[33:34], v[11:12]
	v_add_f64 v[17:18], v[37:38], v[13:14]
	v_add_f64 v[31:32], v[27:28], -v[15:16]
	v_add_f64 v[33:34], v[15:16], -v[33:34]
	;; [unrolled: 1-line block ×10, first 2 shown]
	v_add_f64 v[11:12], v[11:12], v[15:16]
	v_add_f64 v[13:14], v[13:14], v[17:18]
	;; [unrolled: 1-line block ×4, first 2 shown]
	v_mul_f64 v[11:12], v[19:20], v[11:12]
	v_mul_f64 v[13:14], v[21:22], v[13:14]
	v_add_f64 v[15:16], v[25:26], v[11:12]
	v_add_f64 v[17:18], v[29:30], v[13:14]
	v_add_f64 v[19:20], v[15:16], -v[25:26]
	v_mul_f64 v[23:24], v[15:16], v[15:16]
	v_add_f64 v[21:22], v[17:18], -v[29:30]
	v_add_f64 v[11:12], v[11:12], -v[19:20]
	v_mul_f64 v[19:20], v[17:18], v[17:18]
	v_add_f64 v[13:14], v[13:14], -v[21:22]
	v_fma_f64 v[21:22], v[15:16], v[15:16], -v[23:24]
	v_add_f64 v[25:26], v[11:12], v[11:12]
	v_fma_f64 v[27:28], v[17:18], v[17:18], -v[19:20]
	v_add_f64 v[29:30], v[13:14], v[13:14]
	v_fma_f64 v[21:22], v[15:16], v[25:26], v[21:22]
	v_fma_f64 v[25:26], v[17:18], v[29:30], v[27:28]
	v_add_f64 v[27:28], v[23:24], v[21:22]
	v_add_f64 v[29:30], v[19:20], v[25:26]
	v_fma_f64 v[31:32], v[27:28], s[6:7], s[4:5]
	v_add_f64 v[23:24], v[27:28], -v[23:24]
	v_mul_f64 v[41:42], v[15:16], v[27:28]
	v_fma_f64 v[33:34], v[29:30], s[6:7], s[4:5]
	s_mov_b32 s4, 0x3abe935a
	s_mov_b32 s5, 0x3fbe25e4
	v_add_f64 v[19:20], v[29:30], -v[19:20]
	v_mul_f64 v[45:46], v[17:18], v[29:30]
	s_mov_b32 s6, 0x652b82fe
	s_mov_b32 s7, 0x3ff71547
	v_fma_f64 v[31:32], v[27:28], v[31:32], s[4:5]
	v_add_f64 v[21:22], v[21:22], -v[23:24]
	v_fma_f64 v[47:48], v[27:28], v[15:16], -v[41:42]
	v_fma_f64 v[33:34], v[29:30], v[33:34], s[4:5]
	s_mov_b32 s4, 0x47e6c9c2
	s_mov_b32 s5, 0x3fc110ef
	v_add_f64 v[19:20], v[25:26], -v[19:20]
	v_fma_f64 v[49:50], v[29:30], v[17:18], -v[45:46]
	v_fma_f64 v[31:32], v[27:28], v[31:32], s[4:5]
	v_fma_f64 v[33:34], v[29:30], v[33:34], s[4:5]
	s_mov_b32 s4, 0xcfa74449
	s_mov_b32 s5, 0x3fc3b13b
	v_fma_f64 v[31:32], v[27:28], v[31:32], s[4:5]
	v_fma_f64 v[33:34], v[29:30], v[33:34], s[4:5]
	s_mov_b32 s4, 0x71bf3c30
	s_mov_b32 s5, 0x3fc745d1
	;; [unrolled: 4-line block ×6, first 2 shown]
	v_mul_f64 v[35:36], v[27:28], v[31:32]
	v_mul_f64 v[37:38], v[29:30], v[33:34]
	v_fma_f64 v[23:24], v[27:28], v[31:32], -v[35:36]
	v_fma_f64 v[27:28], v[27:28], v[11:12], v[47:48]
	v_ldexp_f64 v[11:12], v[11:12], 1
	v_fma_f64 v[25:26], v[29:30], v[33:34], -v[37:38]
	v_fma_f64 v[29:30], v[29:30], v[13:14], v[49:50]
	v_ldexp_f64 v[13:14], v[13:14], 1
	v_fma_f64 v[23:24], v[21:22], v[31:32], v[23:24]
	v_fma_f64 v[21:22], v[21:22], v[15:16], v[27:28]
	v_ldexp_f64 v[15:16], v[15:16], 1
	v_fma_f64 v[25:26], v[19:20], v[33:34], v[25:26]
	v_fma_f64 v[19:20], v[19:20], v[17:18], v[29:30]
	v_ldexp_f64 v[17:18], v[17:18], 1
	v_add_f64 v[31:32], v[35:36], v[23:24]
	v_add_f64 v[29:30], v[41:42], v[21:22]
	v_add_f64 v[33:34], v[37:38], v[25:26]
	v_add_f64 v[35:36], v[31:32], -v[35:36]
	v_add_f64 v[39:40], v[31:32], s[2:3]
	v_add_f64 v[41:42], v[29:30], -v[41:42]
	v_add_f64 v[37:38], v[33:34], -v[37:38]
	v_add_f64 v[43:44], v[33:34], s[2:3]
	s_mov_b32 s3, 0xbfe55555
	v_add_f64 v[23:24], v[23:24], -v[35:36]
	v_add_f64 v[35:36], v[39:40], s[2:3]
	v_add_f64 v[21:22], v[21:22], -v[41:42]
	v_add_f64 v[25:26], v[25:26], -v[37:38]
	v_add_f64 v[37:38], v[43:44], s[2:3]
	s_mov_b32 s2, 0xd5df274d
	s_mov_b32 s3, 0x3c8543b0
	v_add_f64 v[23:24], v[23:24], s[2:3]
	v_add_f64 v[31:32], v[31:32], -v[35:36]
	v_add_f64 v[25:26], v[25:26], s[2:3]
	v_add_f64 v[33:34], v[33:34], -v[37:38]
	s_mov_b32 s2, 0xfefa39ef
	s_mov_b32 s3, 0x3fe62e42
	v_add_f64 v[23:24], v[23:24], v[31:32]
	v_add_f64 v[25:26], v[25:26], v[33:34]
	;; [unrolled: 1-line block ×5, first 2 shown]
	v_add_f64 v[45:46], v[33:34], -v[45:46]
	v_add_f64 v[35:36], v[39:40], -v[27:28]
	v_mul_f64 v[37:38], v[29:30], v[27:28]
	v_add_f64 v[39:40], v[43:44], -v[31:32]
	v_mul_f64 v[43:44], v[33:34], v[31:32]
	v_add_f64 v[19:20], v[19:20], -v[45:46]
	v_add_f64 v[23:24], v[23:24], v[35:36]
	v_fma_f64 v[35:36], v[29:30], v[27:28], -v[37:38]
	v_add_f64 v[25:26], v[25:26], v[39:40]
	v_fma_f64 v[39:40], v[33:34], v[31:32], -v[43:44]
	v_fma_f64 v[23:24], v[29:30], v[23:24], v[35:36]
	v_fma_f64 v[25:26], v[33:34], v[25:26], v[39:40]
	v_cvt_f64_i32_e32 v[33:34], v52
	v_fma_f64 v[21:22], v[21:22], v[27:28], v[23:24]
	v_cvt_f64_i32_e32 v[27:28], v51
	v_fma_f64 v[19:20], v[19:20], v[31:32], v[25:26]
	v_add_f64 v[23:24], v[37:38], v[21:22]
	v_mul_f64 v[39:40], v[27:28], s[2:3]
	v_add_f64 v[25:26], v[43:44], v[19:20]
	v_add_f64 v[29:30], v[23:24], -v[37:38]
	v_add_f64 v[31:32], v[15:16], v[23:24]
	v_add_f64 v[35:36], v[25:26], -v[43:44]
	;; [unrolled: 2-line block ×3, first 2 shown]
	v_add_f64 v[15:16], v[31:32], -v[15:16]
	v_mul_f64 v[29:30], v[33:34], s[2:3]
	v_add_f64 v[19:20], v[19:20], -v[35:36]
	v_add_f64 v[17:18], v[37:38], -v[17:18]
	v_fma_f64 v[35:36], v[27:28], s[2:3], -v[39:40]
	v_add_f64 v[11:12], v[11:12], v[21:22]
	v_add_f64 v[15:16], v[23:24], -v[15:16]
	v_fma_f64 v[21:22], v[33:34], s[2:3], -v[29:30]
	v_add_f64 v[13:14], v[13:14], v[19:20]
	v_add_f64 v[17:18], v[25:26], -v[17:18]
	v_fma_f64 v[19:20], v[27:28], s[4:5], v[35:36]
	s_mov_b32 s3, 0xbfe62e42
	v_add_f64 v[11:12], v[11:12], v[15:16]
	v_fma_f64 v[15:16], v[33:34], s[4:5], v[21:22]
	s_mov_b32 s5, 0xbc7abc9e
	v_add_f64 v[13:14], v[13:14], v[17:18]
	v_add_f64 v[17:18], v[39:40], v[19:20]
	;; [unrolled: 1-line block ×5, first 2 shown]
	v_add_f64 v[39:40], v[17:18], -v[39:40]
	v_add_f64 v[27:28], v[17:18], v[21:22]
	v_add_f64 v[31:32], v[21:22], -v[31:32]
	v_add_f64 v[29:30], v[23:24], -v[29:30]
	v_add_f64 v[33:34], v[23:24], v[25:26]
	v_add_f64 v[37:38], v[25:26], -v[37:38]
	v_add_f64 v[19:20], v[19:20], -v[39:40]
	v_mul_f64 v[39:40], v[8:9], 0.5
	v_add_f64 v[35:36], v[27:28], -v[17:18]
	v_add_f64 v[11:12], v[11:12], -v[31:32]
	v_add_f64 v[15:16], v[15:16], -v[29:30]
	v_add_f64 v[41:42], v[33:34], -v[23:24]
	v_add_f64 v[13:14], v[13:14], -v[37:38]
	v_add_f64 v[43:44], v[27:28], -v[35:36]
	v_add_f64 v[21:22], v[21:22], -v[35:36]
	v_add_f64 v[29:30], v[19:20], v[11:12]
	v_add_f64 v[45:46], v[33:34], -v[41:42]
	v_add_f64 v[25:26], v[25:26], -v[41:42]
	;; [unrolled: 1-line block ×4, first 2 shown]
	v_add_f64 v[17:18], v[21:22], v[17:18]
	v_add_f64 v[21:22], v[15:16], v[13:14]
	;; [unrolled: 1-line block ×3, first 2 shown]
	v_add_f64 v[25:26], v[29:30], -v[19:20]
	v_add_f64 v[17:18], v[29:30], v[17:18]
	v_add_f64 v[31:32], v[21:22], -v[15:16]
	v_add_f64 v[23:24], v[21:22], v[23:24]
	v_add_f64 v[29:30], v[29:30], -v[25:26]
	v_add_f64 v[11:12], v[11:12], -v[25:26]
	v_add_f64 v[35:36], v[27:28], v[17:18]
	v_add_f64 v[21:22], v[21:22], -v[31:32]
	;; [unrolled: 3-line block ×3, first 2 shown]
	v_add_f64 v[25:26], v[35:36], -v[27:28]
	v_add_f64 v[15:16], v[15:16], -v[21:22]
	;; [unrolled: 1-line block ×3, first 2 shown]
	v_add_f64 v[11:12], v[11:12], v[19:20]
	v_add_f64 v[17:18], v[17:18], -v[25:26]
	v_add_f64 v[13:14], v[13:14], v[15:16]
	v_add_f64 v[15:16], v[23:24], -v[21:22]
	v_add_f64 v[11:12], v[11:12], v[17:18]
	v_add_f64 v[13:14], v[13:14], v[15:16]
	;; [unrolled: 1-line block ×4, first 2 shown]
	v_add_f64 v[19:20], v[15:16], -v[35:36]
	v_mul_f64 v[21:22], v[8:9], v[15:16]
	v_add_f64 v[23:24], v[17:18], -v[37:38]
	v_mul_f64 v[25:26], v[6:7], v[17:18]
	v_add_f64 v[11:12], v[11:12], -v[19:20]
	v_fma_f64 v[15:16], v[8:9], v[15:16], -v[21:22]
	v_cmp_class_f64_e64 vcc_lo, v[21:22], 0x204
	v_add_f64 v[13:14], v[13:14], -v[23:24]
	v_fma_f64 v[17:18], v[6:7], v[17:18], -v[25:26]
	v_cmp_class_f64_e64 s1, v[25:26], 0x204
	v_fma_f64 v[11:12], v[8:9], v[11:12], v[15:16]
	v_fma_f64 v[13:14], v[6:7], v[13:14], v[17:18]
	v_add_f64 v[15:16], v[21:22], v[11:12]
	v_add_f64 v[17:18], v[25:26], v[13:14]
	v_cndmask_b32_e32 v20, v16, v22, vcc_lo
	v_cndmask_b32_e32 v19, v15, v21, vcc_lo
	v_add_f64 v[15:16], v[15:16], -v[21:22]
	v_cndmask_b32_e64 v24, v18, v26, s1
	v_cndmask_b32_e64 v23, v17, v25, s1
	v_add_f64 v[17:18], v[17:18], -v[25:26]
	v_mul_f64 v[27:28], v[19:20], s[6:7]
	v_cmp_eq_f64_e32 vcc_lo, 0, v[4:5]
	v_mul_f64 v[29:30], v[23:24], s[6:7]
	v_cmp_nlt_f64_e64 s6, 0x40900000, v[19:20]
	v_cmp_ngt_f64_e64 s7, 0xc090cc00, v[19:20]
	v_cmp_nlt_f64_e64 s8, 0x40900000, v[23:24]
	v_cmp_ngt_f64_e64 s9, 0xc090cc00, v[23:24]
	v_rndne_f64_e32 v[27:28], v[27:28]
	s_or_b32 s12, vcc_lo, s12
	s_and_b32 s46, vcc_lo, exec_lo
	v_rndne_f64_e32 v[29:30], v[29:30]
	s_cselect_b32 s46, 0, 0x7ff00000
	v_fma_f64 v[31:32], v[27:28], s[2:3], v[19:20]
	v_cvt_i32_f64_e32 v41, v[27:28]
	v_fma_f64 v[33:34], v[29:30], s[2:3], v[23:24]
	s_mov_b32 s2, 0xfca7ab0c
	s_mov_b32 s3, 0x3e928af3
	v_cvt_i32_f64_e32 v42, v[29:30]
	v_fma_f64 v[31:32], v[27:28], s[4:5], v[31:32]
	v_fma_f64 v[33:34], v[29:30], s[4:5], v[33:34]
	s_mov_b32 s4, 0x6a5dcb37
	s_mov_b32 s5, 0x3e5ade15
	v_fma_f64 v[35:36], v[31:32], s[4:5], s[2:3]
	v_fma_f64 v[37:38], v[33:34], s[4:5], s[2:3]
	s_mov_b32 s2, 0x623fde64
	s_mov_b32 s3, 0x3ec71dee
	v_cmp_neq_f64_e64 s4, 0x7ff00000, |v[19:20]|
	v_cmp_neq_f64_e64 s5, 0x7ff00000, |v[23:24]|
	v_fma_f64 v[35:36], v[31:32], v[35:36], s[2:3]
	v_fma_f64 v[37:38], v[33:34], v[37:38], s[2:3]
	s_mov_b32 s2, 0x7c89e6b0
	s_mov_b32 s3, 0x3efa0199
	v_fma_f64 v[35:36], v[31:32], v[35:36], s[2:3]
	v_fma_f64 v[37:38], v[33:34], v[37:38], s[2:3]
	s_mov_b32 s2, 0x14761f6e
	s_mov_b32 s3, 0x3f2a01a0
	;; [unrolled: 4-line block ×7, first 2 shown]
	v_fma_f64 v[35:36], v[31:32], v[35:36], s[2:3]
	v_fma_f64 v[37:38], v[33:34], v[37:38], s[2:3]
	v_cmp_eq_f64_e64 s2, 0, v[2:3]
	v_fma_f64 v[35:36], v[31:32], v[35:36], 1.0
	v_fma_f64 v[37:38], v[33:34], v[37:38], 1.0
	s_or_b32 vcc_lo, s2, s43
	v_fma_f64 v[27:28], v[31:32], v[35:36], 1.0
	v_trunc_f64_e32 v[35:36], v[39:40]
	v_mul_f64 v[31:32], v[6:7], 0.5
	v_fma_f64 v[29:30], v[33:34], v[37:38], 1.0
	v_trunc_f64_e32 v[33:34], v[8:9]
	v_ldexp_f64 v[21:22], v[27:28], v41
	v_cmp_neq_f64_e64 s3, v[35:36], v[39:40]
	v_trunc_f64_e32 v[27:28], v[6:7]
	v_ldexp_f64 v[25:26], v[29:30], v42
	v_cmp_eq_f64_e64 s1, v[33:34], v[8:9]
	v_add_f64 v[8:9], v[11:12], -v[15:16]
	v_add_f64 v[11:12], v[13:14], -v[17:18]
	v_trunc_f64_e32 v[29:30], v[31:32]
	v_cndmask_b32_e64 v2, 0x7ff00000, v22, s6
	v_cmp_eq_f64_e64 s10, v[27:28], v[6:7]
	v_cndmask_b32_e64 v4, 0x7ff00000, v26, s8
	s_and_b32 s1, s1, s3
	s_and_b32 s3, s7, s6
	v_cndmask_b32_e64 v7, 0, v9, s4
	v_cndmask_b32_e64 v6, 0, v8, s4
	;; [unrolled: 1-line block ×6, first 2 shown]
	s_and_b32 s2, s2, exec_lo
	s_cselect_b32 s4, 0, 0x7ff00000
	s_and_b32 s2, s9, s8
	v_cndmask_b32_e64 v14, 0, v4, s9
	v_cndmask_b32_e64 v13, 0, v25, s2
	v_fma_f64 v[6:7], v[11:12], v[6:7], v[11:12]
	v_cmp_class_f64_e64 s2, v[11:12], 0x204
	v_cmp_neq_f64_e64 s11, v[29:30], v[31:32]
	v_cndmask_b32_e64 v2, 0, v5, s1
	v_fma_f64 v[8:9], v[13:14], v[8:9], v[13:14]
	v_cmp_class_f64_e64 s3, v[13:14], 0x204
	v_cndmask_b32_e64 v4, 0x3ff00000, v5, s1
	v_cmp_neq_f32_e64 s8, s44, 0
	s_mov_b32 s5, 0
	v_cndmask_b32_e64 v7, v7, v12, s2
	s_and_b32 s1, s10, s11
	v_cndmask_b32_e64 v6, v6, v11, s2
	v_cndmask_b32_e64 v5, 0, v3, s1
	;; [unrolled: 1-line block ×4, first 2 shown]
	v_bfi_b32 v11, 0x7fffffff, s46, v2
	v_bfi_b32 v4, 0x7fffffff, v7, v4
	v_cndmask_b32_e64 v8, v8, v13, s3
	v_bfi_b32 v5, 0x7fffffff, s4, v5
	v_bfi_b32 v7, 0x7fffffff, v9, v3
	v_cndmask_b32_e64 v2, v6, 0, s12
	v_cndmask_b32_e64 v3, v4, v11, s12
	v_cndmask_b32_e64 v4, v8, 0, vcc_lo
	s_mul_i32 s4, s56, s40
	v_cndmask_b32_e32 v5, v7, v5, vcc_lo
	s_cmp_lg_u64 s[20:21], 0
	v_add_f64 v[2:3], -v[2:3], 1.0
	s_cselect_b32 s9, -1, 0
	s_lshl_b64 s[6:7], s[4:5], 1
	v_add_f64 v[4:5], -v[4:5], 1.0
	v_cvt_f32_f64_e32 v2, v[2:3]
	v_cvt_f32_f64_e32 v6, v[4:5]
	v_mul_f32_e32 v3, 0x4f800000, v2
	v_cmp_gt_f32_e32 vcc_lo, 0xf800000, v2
	v_div_scale_f32 v7, null, v6, v6, s13
	v_div_scale_f32 v9, s1, s13, v6, s13
	v_cndmask_b32_e32 v12, v2, v3, vcc_lo
	v_rcp_f32_e32 v11, v7
	v_sqrt_f32_e32 v2, v12
	v_fma_f32 v3, -v7, v11, 1.0
	v_add_nc_u32_e32 v4, -1, v2
	v_add_nc_u32_e32 v5, 1, v2
	v_fmac_f32_e32 v11, v3, v11
	v_fma_f32 v3, -v4, v2, v12
	v_fma_f32 v8, -v5, v2, v12
	v_mul_f32_e32 v13, v9, v11
	v_cmp_ge_f32_e64 s2, 0, v3
	v_fma_f32 v3, -v7, v13, v9
	v_cndmask_b32_e64 v2, v2, v4, s2
	v_cmp_lt_f32_e64 s2, 0, v8
	v_fmac_f32_e32 v13, v3, v11
	v_mul_f32_e64 v8, s13, s44
	v_cndmask_b32_e64 v14, v2, v5, s2
	v_fma_f32 v7, -v7, v13, v9
	v_lshlrev_b64 v[4:5], 1, v[0:1]
	v_lshlrev_b64 v[2:3], 2, v[0:1]
	v_sub_f32_e64 v9, 1.0, s15
	v_mul_f32_e32 v15, 0x37800000, v14
	s_lshl_b64 s[2:3], s[4:5], 2
	v_cndmask_b32_e32 v14, v14, v15, vcc_lo
	s_mov_b32 vcc_lo, s1
	v_div_fmas_f32 v7, v7, v11, v13
	v_cmp_class_f32_e64 vcc_lo, v12, 0x260
	v_sub_f32_e64 v11, 1.0, s14
	v_div_fixup_f32 v13, v7, v6, s13
	v_cndmask_b32_e32 v12, v14, v12, vcc_lo
	v_add_co_u32 v4, vcc_lo, s20, v4
	v_add_co_ci_u32_e64 v5, null, s21, v5, vcc_lo
	s_branch .LBB2_23
.LBB2_22:                               ;   in Loop: Header=BB2_23 Depth=1
	s_add_u32 s22, s22, s2
	s_addc_u32 s23, s23, s3
	s_add_u32 s16, s16, s2
	s_addc_u32 s17, s17, s3
	s_add_u32 s24, s24, s2
	v_add_co_u32 v0, vcc_lo, v0, s4
	s_addc_u32 s25, s25, s3
	s_add_u32 s28, s28, s2
	v_add_co_ci_u32_e64 v1, null, 0, v1, vcc_lo
	s_addc_u32 s29, s29, s3
	s_add_u32 s36, s36, s2
	s_addc_u32 s37, s37, s3
	s_add_u32 s38, s38, s2
	;; [unrolled: 2-line block ×3, first 2 shown]
	v_cmp_le_u64_e32 vcc_lo, s[34:35], v[0:1]
	s_addc_u32 s19, s19, s3
	v_add_co_u32 v4, s1, v4, s6
	s_add_u32 s26, s26, s2
	s_addc_u32 s27, s27, s3
	v_add_co_ci_u32_e64 v5, null, s7, v5, s1
	s_add_u32 s30, s30, s2
	s_addc_u32 s31, s31, s3
	s_or_b32 s5, vcc_lo, s5
	s_andn2_b32 exec_lo, exec_lo, s5
	s_cbranch_execz .LBB2_34
.LBB2_23:                               ; =>This Inner Loop Header: Depth=1
	v_add_co_u32 v6, vcc_lo, s22, v2
	v_add_co_ci_u32_e64 v7, null, s23, v3, vcc_lo
	global_load_dword v19, v[6:7], off
	v_add_co_u32 v6, vcc_lo, s16, v2
	v_add_co_ci_u32_e64 v7, null, s17, v3, vcc_lo
	v_add_co_u32 v15, vcc_lo, s24, v2
	v_add_co_ci_u32_e64 v16, null, s25, v3, vcc_lo
	;; [unrolled: 2-line block ×3, first 2 shown]
	global_load_dword v14, v[6:7], off
	global_load_dword v6, v[15:16], off
	global_load_dword v16, v[17:18], off
	s_waitcnt vmcnt(3)
	v_div_scale_f32 v7, null, v10, v10, v19
	v_rcp_f32_e32 v15, v7
	v_fma_f32 v17, -v7, v15, 1.0
	v_fmac_f32_e32 v15, v17, v15
	v_div_scale_f32 v17, vcc_lo, v19, v10, v19
	v_mul_f32_e32 v18, v17, v15
	v_fma_f32 v20, -v7, v18, v17
	v_fmac_f32_e32 v18, v20, v15
	v_fma_f32 v7, -v7, v18, v17
	v_div_fmas_f32 v7, v7, v15, v18
	s_andn2_b32 vcc_lo, exec_lo, s8
	v_div_fixup_f32 v7, v7, v10, v19
	v_cndmask_b32_e64 v7, v7, v19, s0
	v_cndmask_b32_e64 v7, v7, -v7, s41
	s_cbranch_vccnz .LBB2_29
; %bb.24:                               ;   in Loop: Header=BB2_23 Depth=1
	s_and_b32 vcc_lo, exec_lo, s42
	s_mov_b32 s1, -1
                                        ; implicit-def: $vgpr15
	s_cbranch_vccz .LBB2_26
; %bb.25:                               ;   in Loop: Header=BB2_23 Depth=1
	s_waitcnt vmcnt(2)
	v_fma_f32 v15, s44, v14, v7
	s_mov_b32 s1, 0
.LBB2_26:                               ;   in Loop: Header=BB2_23 Depth=1
	s_andn2_b32 vcc_lo, exec_lo, s1
	s_cbranch_vccnz .LBB2_28
; %bb.27:                               ;   in Loop: Header=BB2_23 Depth=1
	s_waitcnt vmcnt(2)
	v_fma_f32 v14, -v8, v14, v14
	s_branch .LBB2_29
.LBB2_28:                               ;   in Loop: Header=BB2_23 Depth=1
	v_mov_b32_e32 v7, v15
.LBB2_29:                               ;   in Loop: Header=BB2_23 Depth=1
	v_mul_f32_e32 v15, v7, v7
	s_andn2_b32 vcc_lo, exec_lo, s33
	v_mul_f32_e32 v15, v9, v15
	s_waitcnt vmcnt(0)
	v_fmac_f32_e32 v15, s15, v16
	v_mov_b32_e32 v16, v15
	s_cbranch_vccnz .LBB2_31
; %bb.30:                               ;   in Loop: Header=BB2_23 Depth=1
	v_add_co_u32 v16, vcc_lo, s36, v2
	v_add_co_ci_u32_e64 v17, null, s37, v3, vcc_lo
	global_load_dword v16, v[16:17], off
	v_max_f32_e32 v17, v15, v15
	s_waitcnt vmcnt(0)
	v_max_f32_e32 v16, v16, v16
	v_max_f32_e32 v16, v16, v17
	v_add_co_u32 v17, vcc_lo, s38, v2
	v_add_co_ci_u32_e64 v18, null, s39, v3, vcc_lo
	global_store_dword v[17:18], v16, off
.LBB2_31:                               ;   in Loop: Header=BB2_23 Depth=1
	v_mul_f32_e32 v17, 0x4f800000, v16
	v_cmp_gt_f32_e32 vcc_lo, 0xf800000, v16
	v_cndmask_b32_e32 v16, v16, v17, vcc_lo
	v_sqrt_f32_e32 v17, v16
	v_add_nc_u32_e32 v18, -1, v17
	v_add_nc_u32_e32 v19, 1, v17
	v_fma_f32 v20, -v18, v17, v16
	v_fma_f32 v21, -v19, v17, v16
	v_cmp_ge_f32_e64 s1, 0, v20
	v_cndmask_b32_e64 v17, v17, v18, s1
	v_cmp_lt_f32_e64 s1, 0, v21
	v_cndmask_b32_e64 v17, v17, v19, s1
	v_mul_f32_e32 v18, 0x37800000, v17
	v_cndmask_b32_e32 v17, v17, v18, vcc_lo
	v_cmp_class_f32_e64 vcc_lo, v16, 0x260
	v_cndmask_b32_e32 v16, v17, v16, vcc_lo
	v_div_scale_f32 v17, null, v12, v12, v16
	v_div_scale_f32 v20, vcc_lo, v16, v12, v16
	v_rcp_f32_e32 v18, v17
	v_fma_f32 v19, -v17, v18, 1.0
	v_fmac_f32_e32 v18, v19, v18
	v_mul_f32_e32 v19, v20, v18
	v_fma_f32 v21, -v17, v19, v20
	v_fmac_f32_e32 v19, v21, v18
	v_fma_f32 v17, -v17, v19, v20
	v_mul_f32_e32 v20, v11, v7
	v_div_fmas_f32 v7, v17, v18, v19
	v_fmac_f32_e32 v20, s14, v6
	v_div_fixup_f32 v6, v7, v12, v16
	v_mul_f32_e32 v16, v13, v20
	v_add_f32_e32 v17, s45, v6
	v_div_scale_f32 v6, null, v17, v17, v16
	v_div_scale_f32 v19, vcc_lo, v16, v17, v16
	v_rcp_f32_e32 v7, v6
	v_fma_f32 v18, -v6, v7, 1.0
	v_fmac_f32_e32 v7, v18, v7
	v_mul_f32_e32 v18, v19, v7
	v_fma_f32 v21, -v6, v18, v19
	v_fmac_f32_e32 v18, v21, v7
	v_fma_f32 v6, -v6, v18, v19
	v_div_fmas_f32 v18, v6, v7, v18
	v_add_co_u32 v6, vcc_lo, s18, v2
	v_add_co_ci_u32_e64 v7, null, s19, v3, vcc_lo
	v_div_fixup_f32 v18, v18, v17, v16
	v_add_co_u32 v16, vcc_lo, s26, v2
	v_add_co_ci_u32_e64 v17, null, s27, v3, vcc_lo
	v_sub_f32_e32 v14, v14, v18
	v_add_co_u32 v18, vcc_lo, s30, v2
	v_add_co_ci_u32_e64 v19, null, s31, v3, vcc_lo
	s_andn2_b32 vcc_lo, exec_lo, s9
	global_store_dword v[6:7], v14, off
	global_store_dword v[16:17], v20, off
	;; [unrolled: 1-line block ×3, first 2 shown]
	s_cbranch_vccnz .LBB2_22
; %bb.32:                               ;   in Loop: Header=BB2_23 Depth=1
	global_load_dword v6, v[6:7], off
	s_waitcnt vmcnt(0)
	v_cvt_f16_f32_e32 v6, v6
	global_store_short v[4:5], v6, off
	s_branch .LBB2_22
.LBB2_33:
	s_cbranch_execnz .LBB2_18
.LBB2_34:
	s_endpgm
	.section	.rodata,"a",@progbits
	.p2align	6, 0x0
	.amdhsa_kernel AmpAdamContiguous
		.amdhsa_group_segment_fixed_size 0
		.amdhsa_private_segment_fixed_size 0
		.amdhsa_kernarg_size 392
		.amdhsa_user_sgpr_count 6
		.amdhsa_user_sgpr_private_segment_buffer 1
		.amdhsa_user_sgpr_dispatch_ptr 0
		.amdhsa_user_sgpr_queue_ptr 0
		.amdhsa_user_sgpr_kernarg_segment_ptr 1
		.amdhsa_user_sgpr_dispatch_id 0
		.amdhsa_user_sgpr_flat_scratch_init 0
		.amdhsa_user_sgpr_private_segment_size 0
		.amdhsa_wavefront_size32 1
		.amdhsa_uses_dynamic_stack 0
		.amdhsa_system_sgpr_private_segment_wavefront_offset 0
		.amdhsa_system_sgpr_workgroup_id_x 1
		.amdhsa_system_sgpr_workgroup_id_y 0
		.amdhsa_system_sgpr_workgroup_id_z 0
		.amdhsa_system_sgpr_workgroup_info 0
		.amdhsa_system_vgpr_workitem_id 0
		.amdhsa_next_free_vgpr 53
		.amdhsa_next_free_sgpr 62
		.amdhsa_reserve_vcc 1
		.amdhsa_reserve_flat_scratch 0
		.amdhsa_float_round_mode_32 0
		.amdhsa_float_round_mode_16_64 0
		.amdhsa_float_denorm_mode_32 3
		.amdhsa_float_denorm_mode_16_64 3
		.amdhsa_dx10_clamp 1
		.amdhsa_ieee_mode 1
		.amdhsa_fp16_overflow 0
		.amdhsa_workgroup_processor_mode 1
		.amdhsa_memory_ordered 1
		.amdhsa_forward_progress 1
		.amdhsa_shared_vgpr_count 0
		.amdhsa_exception_fp_ieee_invalid_op 0
		.amdhsa_exception_fp_denorm_src 0
		.amdhsa_exception_fp_ieee_div_zero 0
		.amdhsa_exception_fp_ieee_overflow 0
		.amdhsa_exception_fp_ieee_underflow 0
		.amdhsa_exception_fp_ieee_inexact 0
		.amdhsa_exception_int_div_zero 0
	.end_amdhsa_kernel
	.text
.Lfunc_end2:
	.size	AmpAdamContiguous, .Lfunc_end2-AmpAdamContiguous
                                        ; -- End function
	.set AmpAdamContiguous.num_vgpr, 53
	.set AmpAdamContiguous.num_agpr, 0
	.set AmpAdamContiguous.numbered_sgpr, 62
	.set AmpAdamContiguous.num_named_barrier, 0
	.set AmpAdamContiguous.private_seg_size, 0
	.set AmpAdamContiguous.uses_vcc, 1
	.set AmpAdamContiguous.uses_flat_scratch, 0
	.set AmpAdamContiguous.has_dyn_sized_stack, 0
	.set AmpAdamContiguous.has_recursion, 0
	.set AmpAdamContiguous.has_indirect_call, 0
	.section	.AMDGPU.csdata,"",@progbits
; Kernel info:
; codeLenInByte = 5220
; TotalNumSgprs: 64
; NumVgprs: 53
; ScratchSize: 0
; MemoryBound: 0
; FloatMode: 240
; IeeeMode: 1
; LDSByteSize: 0 bytes/workgroup (compile time only)
; SGPRBlocks: 0
; VGPRBlocks: 6
; NumSGPRsForWavesPerEU: 64
; NumVGPRsForWavesPerEU: 53
; Occupancy: 16
; WaveLimiterHint : 0
; COMPUTE_PGM_RSRC2:SCRATCH_EN: 0
; COMPUTE_PGM_RSRC2:USER_SGPR: 6
; COMPUTE_PGM_RSRC2:TRAP_HANDLER: 0
; COMPUTE_PGM_RSRC2:TGID_X_EN: 1
; COMPUTE_PGM_RSRC2:TGID_Y_EN: 0
; COMPUTE_PGM_RSRC2:TGID_Z_EN: 0
; COMPUTE_PGM_RSRC2:TIDIG_COMP_CNT: 0
	.text
	.protected	AdamUpdateStep          ; -- Begin function AdamUpdateStep
	.globl	AdamUpdateStep
	.p2align	8
	.type	AdamUpdateStep,@function
AdamUpdateStep:                         ; @AdamUpdateStep
; %bb.0:
	s_load_dword s0, s[4:5], 0x24
	v_sub_nc_u32_e32 v0, 0, v0
	s_waitcnt lgkmcnt(0)
	s_and_b32 s0, s0, 0xffff
	s_mul_i32 s6, s6, s0
	v_cmp_eq_u32_e32 vcc_lo, s6, v0
	s_mov_b32 s6, 0
	s_and_saveexec_b32 s0, vcc_lo
	s_cbranch_execz .LBB3_10
; %bb.1:
	s_clause 0x1
	s_load_dwordx4 s[0:3], s[4:5], 0x0
	s_load_dwordx2 s[4:5], s[4:5], 0x10
	s_waitcnt lgkmcnt(0)
	s_cmp_eq_u64 s[0:1], 0
	s_cselect_b32 s7, -1, 0
	s_and_b32 vcc_lo, exec_lo, s7
	s_cbranch_vccnz .LBB3_6
; %bb.2:
	v_mov_b32_e32 v0, 0
	global_load_ubyte v0, v0, s[0:1]
	s_waitcnt vmcnt(0)
	v_and_b32_e32 v0, 1, v0
	v_cmp_eq_u32_e32 vcc_lo, 1, v0
	s_cbranch_vccz .LBB3_5
; %bb.3:
	s_cmp_lg_u64 s[2:3], s[4:5]
	s_mov_b32 s7, 0
	s_cbranch_scc0 .LBB3_6
; %bb.4:
	s_load_dword s0, s[2:3], 0x0
	s_mov_b32 s6, -1
	s_and_b32 vcc_lo, exec_lo, s7
	s_cbranch_vccnz .LBB3_7
	s_branch .LBB3_8
.LBB3_5:
	s_mov_b32 s7, -1
.LBB3_6:
                                        ; implicit-def: $sgpr0
	s_and_b32 vcc_lo, exec_lo, s7
	s_cbranch_vccz .LBB3_8
.LBB3_7:
	s_waitcnt lgkmcnt(0)
	s_load_dword s0, s[2:3], 0x0
	s_mov_b32 s6, -1
	s_waitcnt lgkmcnt(0)
	s_add_i32 s0, s0, 1
.LBB3_8:
	s_andn2_b32 vcc_lo, exec_lo, s6
	s_cbranch_vccnz .LBB3_10
; %bb.9:
	v_mov_b32_e32 v0, 0
	s_waitcnt lgkmcnt(0)
	v_mov_b32_e32 v1, s0
	global_store_dword v0, v1, s[4:5]
.LBB3_10:
	s_endpgm
	.section	.rodata,"a",@progbits
	.p2align	6, 0x0
	.amdhsa_kernel AdamUpdateStep
		.amdhsa_group_segment_fixed_size 0
		.amdhsa_private_segment_fixed_size 0
		.amdhsa_kernarg_size 280
		.amdhsa_user_sgpr_count 6
		.amdhsa_user_sgpr_private_segment_buffer 1
		.amdhsa_user_sgpr_dispatch_ptr 0
		.amdhsa_user_sgpr_queue_ptr 0
		.amdhsa_user_sgpr_kernarg_segment_ptr 1
		.amdhsa_user_sgpr_dispatch_id 0
		.amdhsa_user_sgpr_flat_scratch_init 0
		.amdhsa_user_sgpr_private_segment_size 0
		.amdhsa_wavefront_size32 1
		.amdhsa_uses_dynamic_stack 0
		.amdhsa_system_sgpr_private_segment_wavefront_offset 0
		.amdhsa_system_sgpr_workgroup_id_x 1
		.amdhsa_system_sgpr_workgroup_id_y 0
		.amdhsa_system_sgpr_workgroup_id_z 0
		.amdhsa_system_sgpr_workgroup_info 0
		.amdhsa_system_vgpr_workitem_id 0
		.amdhsa_next_free_vgpr 2
		.amdhsa_next_free_sgpr 8
		.amdhsa_reserve_vcc 1
		.amdhsa_reserve_flat_scratch 0
		.amdhsa_float_round_mode_32 0
		.amdhsa_float_round_mode_16_64 0
		.amdhsa_float_denorm_mode_32 3
		.amdhsa_float_denorm_mode_16_64 3
		.amdhsa_dx10_clamp 1
		.amdhsa_ieee_mode 1
		.amdhsa_fp16_overflow 0
		.amdhsa_workgroup_processor_mode 1
		.amdhsa_memory_ordered 1
		.amdhsa_forward_progress 1
		.amdhsa_shared_vgpr_count 0
		.amdhsa_exception_fp_ieee_invalid_op 0
		.amdhsa_exception_fp_denorm_src 0
		.amdhsa_exception_fp_ieee_div_zero 0
		.amdhsa_exception_fp_ieee_overflow 0
		.amdhsa_exception_fp_ieee_underflow 0
		.amdhsa_exception_fp_ieee_inexact 0
		.amdhsa_exception_int_div_zero 0
	.end_amdhsa_kernel
	.text
.Lfunc_end3:
	.size	AdamUpdateStep, .Lfunc_end3-AdamUpdateStep
                                        ; -- End function
	.set AdamUpdateStep.num_vgpr, 2
	.set AdamUpdateStep.num_agpr, 0
	.set AdamUpdateStep.numbered_sgpr, 8
	.set AdamUpdateStep.num_named_barrier, 0
	.set AdamUpdateStep.private_seg_size, 0
	.set AdamUpdateStep.uses_vcc, 1
	.set AdamUpdateStep.uses_flat_scratch, 0
	.set AdamUpdateStep.has_dyn_sized_stack, 0
	.set AdamUpdateStep.has_recursion, 0
	.set AdamUpdateStep.has_indirect_call, 0
	.section	.AMDGPU.csdata,"",@progbits
; Kernel info:
; codeLenInByte = 216
; TotalNumSgprs: 10
; NumVgprs: 2
; ScratchSize: 0
; MemoryBound: 0
; FloatMode: 240
; IeeeMode: 1
; LDSByteSize: 0 bytes/workgroup (compile time only)
; SGPRBlocks: 0
; VGPRBlocks: 0
; NumSGPRsForWavesPerEU: 10
; NumVGPRsForWavesPerEU: 2
; Occupancy: 16
; WaveLimiterHint : 0
; COMPUTE_PGM_RSRC2:SCRATCH_EN: 0
; COMPUTE_PGM_RSRC2:USER_SGPR: 6
; COMPUTE_PGM_RSRC2:TRAP_HANDLER: 0
; COMPUTE_PGM_RSRC2:TGID_X_EN: 1
; COMPUTE_PGM_RSRC2:TGID_Y_EN: 0
; COMPUTE_PGM_RSRC2:TGID_Z_EN: 0
; COMPUTE_PGM_RSRC2:TIDIG_COMP_CNT: 0
	.text
	.protected	TransformersAdamWContiguous ; -- Begin function TransformersAdamWContiguous
	.globl	TransformersAdamWContiguous
	.p2align	8
	.type	TransformersAdamWContiguous,@function
TransformersAdamWContiguous:            ; @TransformersAdamWContiguous
; %bb.0:
	s_clause 0x1
	s_load_dword s7, s[4:5], 0x64
	s_load_dwordx2 s[2:3], s[4:5], 0x50
	s_add_u32 s0, s4, 0x58
	s_addc_u32 s1, s5, 0
	s_waitcnt lgkmcnt(0)
	s_and_b32 s7, s7, 0xffff
	v_mad_u64_u32 v[0:1], null, s6, s7, v[0:1]
	v_mov_b32_e32 v1, 0
	s_mov_b32 s6, exec_lo
	v_cmpx_gt_u64_e64 s[2:3], v[0:1]
	s_cbranch_execz .LBB4_3
; %bb.1:
	s_load_dword s0, s[0:1], 0x0
	s_clause 0x2
	s_load_dwordx4 s[24:27], s[4:5], 0x38
	s_load_dwordx8 s[8:15], s[4:5], 0x0
	s_load_dwordx8 s[16:23], s[4:5], 0x20
	s_waitcnt lgkmcnt(0)
	s_load_dword s22, s[4:5], 0x48
	v_lshlrev_b64 v[2:3], 2, v[0:1]
	s_mov_b32 s5, 0
	s_mul_i32 s4, s0, s7
	v_sub_f32_e64 v4, 1.0, s24
	v_sub_f32_e64 v5, 1.0, s25
	s_lshl_b64 s[6:7], s[4:5], 2
.LBB4_2:                                ; =>This Inner Loop Header: Depth=1
	v_add_co_u32 v6, vcc_lo, s18, v2
	v_add_co_ci_u32_e64 v7, null, s19, v3, vcc_lo
	v_add_co_u32 v8, vcc_lo, s12, v2
	v_add_co_ci_u32_e64 v9, null, s13, v3, vcc_lo
	global_load_dword v10, v[6:7], off
	global_load_dword v8, v[8:9], off
	v_add_co_u32 v6, vcc_lo, s14, v2
	v_add_co_ci_u32_e64 v7, null, s15, v3, vcc_lo
	v_add_co_u32 v0, s1, v0, s4
	v_add_co_ci_u32_e64 v1, null, 0, v1, s1
	global_load_dword v9, v[6:7], off
	v_add_co_u32 v6, vcc_lo, s8, v2
	v_add_co_ci_u32_e64 v7, null, s9, v3, vcc_lo
	global_load_dword v12, v[6:7], off
	s_waitcnt vmcnt(3)
	v_mul_f32_e32 v13, s25, v10
	s_waitcnt vmcnt(2)
	v_mul_f32_e32 v6, v8, v8
	v_fmac_f32_e32 v13, v5, v6
	v_mul_f32_e32 v6, 0x4f800000, v13
	v_cmp_gt_f32_e32 vcc_lo, 0xf800000, v13
	v_cndmask_b32_e32 v6, v13, v6, vcc_lo
	v_sqrt_f32_e32 v7, v6
	v_add_nc_u32_e32 v10, -1, v7
	v_add_nc_u32_e32 v11, 1, v7
	v_fma_f32 v14, -v10, v7, v6
	v_fma_f32 v15, -v11, v7, v6
	v_cmp_ge_f32_e64 s0, 0, v14
	s_waitcnt vmcnt(1)
	v_mul_f32_e32 v14, s24, v9
	v_cndmask_b32_e64 v7, v7, v10, s0
	v_cmp_lt_f32_e64 s0, 0, v15
	v_fmac_f32_e32 v14, v4, v8
	v_cndmask_b32_e64 v7, v7, v11, s0
	s_waitcnt lgkmcnt(0)
	v_mul_f32_e32 v15, s22, v14
	v_mul_f32_e32 v10, 0x37800000, v7
	v_cndmask_b32_e32 v7, v7, v10, vcc_lo
	v_cmp_class_f32_e64 vcc_lo, v6, 0x260
	v_cndmask_b32_e32 v6, v7, v6, vcc_lo
	v_add_f32_e32 v16, s26, v6
	v_add_co_u32 v6, vcc_lo, s10, v2
	v_add_co_ci_u32_e64 v7, null, s11, v3, vcc_lo
	v_div_scale_f32 v17, null, v16, v16, v15
	v_div_scale_f32 v19, s0, v15, v16, v15
	v_add_co_u32 v8, vcc_lo, s16, v2
	v_rcp_f32_e32 v18, v17
	v_fma_f32 v9, -v17, v18, 1.0
	v_fmac_f32_e32 v18, v9, v18
	v_add_co_ci_u32_e64 v9, null, s17, v3, vcc_lo
	v_add_co_u32 v10, vcc_lo, s20, v2
	v_mul_f32_e32 v20, v19, v18
	v_add_co_ci_u32_e64 v11, null, s21, v3, vcc_lo
	s_mov_b32 vcc_lo, s0
	v_cmp_le_u64_e64 s0, s[2:3], v[0:1]
	v_fma_f32 v21, -v17, v20, v19
	v_fmac_f32_e32 v20, v21, v18
	s_or_b32 s5, s0, s5
	v_fma_f32 v17, -v17, v20, v19
	v_div_fmas_f32 v17, v17, v18, v20
	v_add_co_u32 v2, vcc_lo, v2, s6
	v_add_co_ci_u32_e64 v3, null, s7, v3, vcc_lo
	v_div_fixup_f32 v15, v17, v16, v15
	s_waitcnt vmcnt(0)
	v_sub_f32_e32 v12, v12, v15
	v_fma_f32 v12, -s27, v12, v12
	global_store_dword v[6:7], v12, off
	global_store_dword v[8:9], v14, off
	;; [unrolled: 1-line block ×3, first 2 shown]
	s_andn2_b32 exec_lo, exec_lo, s5
	s_cbranch_execnz .LBB4_2
.LBB4_3:
	s_endpgm
	.section	.rodata,"a",@progbits
	.p2align	6, 0x0
	.amdhsa_kernel TransformersAdamWContiguous
		.amdhsa_group_segment_fixed_size 0
		.amdhsa_private_segment_fixed_size 0
		.amdhsa_kernarg_size 344
		.amdhsa_user_sgpr_count 6
		.amdhsa_user_sgpr_private_segment_buffer 1
		.amdhsa_user_sgpr_dispatch_ptr 0
		.amdhsa_user_sgpr_queue_ptr 0
		.amdhsa_user_sgpr_kernarg_segment_ptr 1
		.amdhsa_user_sgpr_dispatch_id 0
		.amdhsa_user_sgpr_flat_scratch_init 0
		.amdhsa_user_sgpr_private_segment_size 0
		.amdhsa_wavefront_size32 1
		.amdhsa_uses_dynamic_stack 0
		.amdhsa_system_sgpr_private_segment_wavefront_offset 0
		.amdhsa_system_sgpr_workgroup_id_x 1
		.amdhsa_system_sgpr_workgroup_id_y 0
		.amdhsa_system_sgpr_workgroup_id_z 0
		.amdhsa_system_sgpr_workgroup_info 0
		.amdhsa_system_vgpr_workitem_id 0
		.amdhsa_next_free_vgpr 22
		.amdhsa_next_free_sgpr 28
		.amdhsa_reserve_vcc 1
		.amdhsa_reserve_flat_scratch 0
		.amdhsa_float_round_mode_32 0
		.amdhsa_float_round_mode_16_64 0
		.amdhsa_float_denorm_mode_32 3
		.amdhsa_float_denorm_mode_16_64 3
		.amdhsa_dx10_clamp 1
		.amdhsa_ieee_mode 1
		.amdhsa_fp16_overflow 0
		.amdhsa_workgroup_processor_mode 1
		.amdhsa_memory_ordered 1
		.amdhsa_forward_progress 1
		.amdhsa_shared_vgpr_count 0
		.amdhsa_exception_fp_ieee_invalid_op 0
		.amdhsa_exception_fp_denorm_src 0
		.amdhsa_exception_fp_ieee_div_zero 0
		.amdhsa_exception_fp_ieee_overflow 0
		.amdhsa_exception_fp_ieee_underflow 0
		.amdhsa_exception_fp_ieee_inexact 0
		.amdhsa_exception_int_div_zero 0
	.end_amdhsa_kernel
	.text
.Lfunc_end4:
	.size	TransformersAdamWContiguous, .Lfunc_end4-TransformersAdamWContiguous
                                        ; -- End function
	.set TransformersAdamWContiguous.num_vgpr, 22
	.set TransformersAdamWContiguous.num_agpr, 0
	.set TransformersAdamWContiguous.numbered_sgpr, 28
	.set TransformersAdamWContiguous.num_named_barrier, 0
	.set TransformersAdamWContiguous.private_seg_size, 0
	.set TransformersAdamWContiguous.uses_vcc, 1
	.set TransformersAdamWContiguous.uses_flat_scratch, 0
	.set TransformersAdamWContiguous.has_dyn_sized_stack, 0
	.set TransformersAdamWContiguous.has_recursion, 0
	.set TransformersAdamWContiguous.has_indirect_call, 0
	.section	.AMDGPU.csdata,"",@progbits
; Kernel info:
; codeLenInByte = 624
; TotalNumSgprs: 30
; NumVgprs: 22
; ScratchSize: 0
; MemoryBound: 0
; FloatMode: 240
; IeeeMode: 1
; LDSByteSize: 0 bytes/workgroup (compile time only)
; SGPRBlocks: 0
; VGPRBlocks: 2
; NumSGPRsForWavesPerEU: 30
; NumVGPRsForWavesPerEU: 22
; Occupancy: 16
; WaveLimiterHint : 0
; COMPUTE_PGM_RSRC2:SCRATCH_EN: 0
; COMPUTE_PGM_RSRC2:USER_SGPR: 6
; COMPUTE_PGM_RSRC2:TRAP_HANDLER: 0
; COMPUTE_PGM_RSRC2:TGID_X_EN: 1
; COMPUTE_PGM_RSRC2:TGID_Y_EN: 0
; COMPUTE_PGM_RSRC2:TGID_Z_EN: 0
; COMPUTE_PGM_RSRC2:TIDIG_COMP_CNT: 0
	.text
	.protected	TransformersAmpAdamWContiguous ; -- Begin function TransformersAmpAdamWContiguous
	.globl	TransformersAmpAdamWContiguous
	.p2align	8
	.type	TransformersAmpAdamWContiguous,@function
TransformersAmpAdamWContiguous:         ; @TransformersAmpAdamWContiguous
; %bb.0:
	s_clause 0x1
	s_load_dword s7, s[4:5], 0x7c
	s_load_dwordx2 s[2:3], s[4:5], 0x68
	s_add_u32 s0, s4, 0x70
	s_addc_u32 s1, s5, 0
	s_mov_b32 s8, exec_lo
	s_waitcnt lgkmcnt(0)
	s_and_b32 s7, s7, 0xffff
	v_mad_u64_u32 v[1:2], null, s6, s7, v[0:1]
	v_mov_b32_e32 v2, 0
	v_cmpx_gt_u64_e64 s[2:3], v[1:2]
	s_cbranch_execz .LBB5_23
; %bb.1:
	s_clause 0x1
	s_load_dwordx4 s[24:27], s[4:5], 0x40
	s_load_dwordx16 s[8:23], s[4:5], 0x0
	s_load_dword s28, s[0:1], 0x0
	s_waitcnt lgkmcnt(0)
	s_cmp_eq_u64 s[26:27], 0
	s_cselect_b32 s29, -1, 0
	s_and_b32 vcc_lo, exec_lo, s29
	s_cbranch_vccnz .LBB5_15
; %bb.2:
	v_mov_b32_e32 v4, 0
	global_load_ubyte v3, v4, s[26:27]
	s_waitcnt vmcnt(0)
	v_cmp_ne_u32_e32 vcc_lo, 0, v3
	s_cbranch_vccz .LBB5_22
; %bb.3:
	s_cmp_lt_u32 s6, s28
	s_cselect_b32 s26, 12, 18
	s_add_u32 s0, s0, s26
	s_addc_u32 s1, s1, 0
	global_load_ushort v5, v4, s[0:1]
	s_mov_b32 s1, exec_lo
	s_waitcnt vmcnt(0)
	v_mad_u64_u32 v[6:7], null, s6, v5, v[0:1]
	v_mov_b32_e32 v3, v6
	v_cmpx_gt_u64_e64 s[2:3], v[3:4]
	s_cbranch_execz .LBB5_14
; %bb.4:
	v_mul_lo_u32 v5, s28, v5
	v_lshlrev_b64 v[11:12], 1, v[3:4]
	v_mov_b32_e32 v6, 0
	s_cmp_lg_u64 s[8:9], s[10:11]
	v_lshlrev_b64 v[7:8], 2, v[3:4]
	s_cselect_b32 s6, -1, 0
	s_cmp_lg_u64 s[12:13], 0
	v_add_co_u32 v11, vcc_lo, s12, v11
	s_cselect_b32 s26, -1, 0
	s_cmp_lg_u64 s[16:17], s[18:19]
	v_lshlrev_b64 v[9:10], 2, v[5:6]
	v_lshlrev_b64 v[13:14], 1, v[5:6]
	v_add_co_ci_u32_e64 v12, null, s13, v12, vcc_lo
	s_cselect_b32 s27, -1, 0
	s_cmp_lg_u64 s[20:21], s[22:23]
	s_mov_b32 s30, 0
	s_cselect_b32 s29, -1, 0
	s_branch .LBB5_6
.LBB5_5:                                ;   in Loop: Header=BB5_6 Depth=1
	v_add_co_u32 v3, vcc_lo, v3, v5
	v_add_co_ci_u32_e64 v4, null, 0, v4, vcc_lo
	v_add_co_u32 v7, vcc_lo, v7, v9
	v_add_co_ci_u32_e64 v8, null, v8, v10, vcc_lo
	v_cmp_le_u64_e32 vcc_lo, s[2:3], v[3:4]
	v_add_co_u32 v11, s0, v11, v13
	v_add_co_ci_u32_e64 v12, null, v12, v14, s0
	s_or_b32 s30, vcc_lo, s30
	s_andn2_b32 exec_lo, exec_lo, s30
	s_cbranch_execz .LBB5_14
.LBB5_6:                                ; =>This Inner Loop Header: Depth=1
	s_andn2_b32 vcc_lo, exec_lo, s6
	s_cbranch_vccnz .LBB5_8
; %bb.7:                                ;   in Loop: Header=BB5_6 Depth=1
	v_add_co_u32 v15, vcc_lo, s8, v7
	v_add_co_ci_u32_e64 v16, null, s9, v8, vcc_lo
	global_load_dword v0, v[15:16], off
	v_add_co_u32 v15, vcc_lo, s10, v7
	v_add_co_ci_u32_e64 v16, null, s11, v8, vcc_lo
	s_waitcnt vmcnt(0)
	global_store_dword v[15:16], v0, off
.LBB5_8:                                ;   in Loop: Header=BB5_6 Depth=1
	s_andn2_b32 vcc_lo, exec_lo, s26
	s_cbranch_vccnz .LBB5_10
; %bb.9:                                ;   in Loop: Header=BB5_6 Depth=1
	v_add_co_u32 v15, vcc_lo, s8, v7
	v_add_co_ci_u32_e64 v16, null, s9, v8, vcc_lo
	global_load_dword v0, v[15:16], off
	s_waitcnt vmcnt(0)
	v_cvt_f16_f32_e32 v0, v0
	global_store_short v[11:12], v0, off
.LBB5_10:                               ;   in Loop: Header=BB5_6 Depth=1
	s_andn2_b32 vcc_lo, exec_lo, s27
	s_cbranch_vccnz .LBB5_12
; %bb.11:                               ;   in Loop: Header=BB5_6 Depth=1
	v_add_co_u32 v15, vcc_lo, s16, v7
	v_add_co_ci_u32_e64 v16, null, s17, v8, vcc_lo
	global_load_dword v0, v[15:16], off
	v_add_co_u32 v15, vcc_lo, s18, v7
	v_add_co_ci_u32_e64 v16, null, s19, v8, vcc_lo
	s_waitcnt vmcnt(0)
	global_store_dword v[15:16], v0, off
.LBB5_12:                               ;   in Loop: Header=BB5_6 Depth=1
	s_andn2_b32 vcc_lo, exec_lo, s29
	s_cbranch_vccnz .LBB5_5
; %bb.13:                               ;   in Loop: Header=BB5_6 Depth=1
	v_add_co_u32 v15, vcc_lo, s20, v7
	v_add_co_ci_u32_e64 v16, null, s21, v8, vcc_lo
	global_load_dword v0, v[15:16], off
	v_add_co_u32 v15, vcc_lo, s22, v7
	v_add_co_ci_u32_e64 v16, null, s23, v8, vcc_lo
	s_waitcnt vmcnt(0)
	global_store_dword v[15:16], v0, off
	s_branch .LBB5_5
.LBB5_14:
	s_or_b32 exec_lo, exec_lo, s1
	s_mov_b32 s29, 0
.LBB5_15:
	s_and_b32 vcc_lo, exec_lo, s29
	s_cbranch_vccz .LBB5_23
.LBB5_16:
	s_cmp_eq_u64 s[24:25], 0
	v_mov_b32_e32 v0, 1.0
	s_cselect_b32 s0, -1, 0
	s_and_b32 vcc_lo, exec_lo, s0
	s_cbranch_vccnz .LBB5_18
; %bb.17:
	v_mov_b32_e32 v0, 0
	global_load_dword v0, v0, s[24:25]
	s_waitcnt vmcnt(0)
	v_cvt_f32_i32_e32 v0, v0
.LBB5_18:
	s_clause 0x1
	s_load_dwordx4 s[24:27], s[4:5], 0x50
	s_load_dword s29, s[4:5], 0x60
	v_lshlrev_b64 v[5:6], 1, v[1:2]
	v_lshlrev_b64 v[3:4], 2, v[1:2]
	s_mul_i32 s4, s28, s7
	s_mov_b32 s5, 0
	s_cmp_lg_u64 s[12:13], 0
	v_add_co_u32 v5, vcc_lo, s12, v5
	v_add_co_ci_u32_e64 v6, null, s13, v6, vcc_lo
	s_cselect_b32 s28, -1, 0
	s_lshl_b64 s[6:7], s[4:5], 1
	s_lshl_b64 s[12:13], s[4:5], 2
	s_waitcnt lgkmcnt(0)
	v_sub_f32_e64 v9, 1.0, s24
	v_sub_f32_e64 v10, 1.0, s25
	s_branch .LBB5_20
.LBB5_19:                               ;   in Loop: Header=BB5_20 Depth=1
	v_add_co_u32 v1, vcc_lo, v1, s4
	v_add_co_ci_u32_e64 v2, null, 0, v2, vcc_lo
	v_add_co_u32 v5, vcc_lo, v5, s6
	v_add_co_ci_u32_e64 v6, null, s7, v6, vcc_lo
	v_cmp_le_u64_e32 vcc_lo, s[2:3], v[1:2]
	v_add_co_u32 v3, s1, v3, s12
	v_add_co_ci_u32_e64 v4, null, s13, v4, s1
	s_or_b32 s5, vcc_lo, s5
	s_andn2_b32 exec_lo, exec_lo, s5
	s_cbranch_execz .LBB5_23
.LBB5_20:                               ; =>This Inner Loop Header: Depth=1
	v_add_co_u32 v7, vcc_lo, s14, v3
	v_add_co_ci_u32_e64 v8, null, s15, v4, vcc_lo
	global_load_dword v11, v[7:8], off
	v_add_co_u32 v7, vcc_lo, s20, v3
	v_add_co_ci_u32_e64 v8, null, s21, v4, vcc_lo
	global_load_dword v12, v[7:8], off
	;; [unrolled: 3-line block ×4, first 2 shown]
	s_waitcnt vmcnt(3)
	v_div_scale_f32 v7, null, v0, v0, v11
	v_div_scale_f32 v16, vcc_lo, v11, v0, v11
	v_rcp_f32_e32 v8, v7
	v_fma_f32 v15, -v7, v8, 1.0
	v_fmac_f32_e32 v8, v15, v8
	v_mul_f32_e32 v15, v16, v8
	v_fma_f32 v17, -v7, v15, v16
	v_fmac_f32_e32 v15, v17, v8
	v_fma_f32 v7, -v7, v15, v16
	v_div_fmas_f32 v7, v7, v8, v15
	s_waitcnt vmcnt(2)
	v_mul_f32_e32 v15, s25, v12
	v_div_fixup_f32 v7, v7, v0, v11
	v_cndmask_b32_e64 v7, v7, v11, s0
	v_mul_f32_e32 v8, v7, v7
	v_fmac_f32_e32 v15, v10, v8
	v_mul_f32_e32 v8, 0x4f800000, v15
	v_cmp_gt_f32_e32 vcc_lo, 0xf800000, v15
	v_cndmask_b32_e32 v8, v15, v8, vcc_lo
	v_sqrt_f32_e32 v11, v8
	v_add_nc_u32_e32 v12, -1, v11
	v_add_nc_u32_e32 v16, 1, v11
	v_fma_f32 v17, -v12, v11, v8
	v_fma_f32 v18, -v16, v11, v8
	v_cmp_ge_f32_e64 s1, 0, v17
	v_cndmask_b32_e64 v11, v11, v12, s1
	v_cmp_lt_f32_e64 s1, 0, v18
	v_cndmask_b32_e64 v11, v11, v16, s1
	s_waitcnt vmcnt(1)
	v_mul_f32_e32 v16, s24, v13
	v_mul_f32_e32 v12, 0x37800000, v11
	v_fmac_f32_e32 v16, v9, v7
	v_cndmask_b32_e32 v11, v11, v12, vcc_lo
	v_cmp_class_f32_e64 vcc_lo, v8, 0x260
	v_cndmask_b32_e32 v7, v11, v8, vcc_lo
	v_mul_f32_e32 v8, s29, v16
	v_add_f32_e32 v7, s26, v7
	v_div_scale_f32 v11, null, v7, v7, v8
	v_div_scale_f32 v17, vcc_lo, v8, v7, v8
	v_rcp_f32_e32 v12, v11
	v_fma_f32 v13, -v11, v12, 1.0
	v_fmac_f32_e32 v12, v13, v12
	v_mul_f32_e32 v13, v17, v12
	v_fma_f32 v18, -v11, v13, v17
	v_fmac_f32_e32 v13, v18, v12
	v_fma_f32 v11, -v11, v13, v17
	v_div_fmas_f32 v11, v11, v12, v13
	v_div_fixup_f32 v11, v11, v7, v8
	v_add_co_u32 v7, vcc_lo, s10, v3
	v_add_co_ci_u32_e64 v8, null, s11, v4, vcc_lo
	s_waitcnt vmcnt(0)
	v_sub_f32_e32 v13, v14, v11
	v_add_co_u32 v11, vcc_lo, s18, v3
	v_add_co_ci_u32_e64 v12, null, s19, v4, vcc_lo
	v_fma_f32 v17, -s27, v13, v13
	v_add_co_u32 v13, vcc_lo, s22, v3
	v_add_co_ci_u32_e64 v14, null, s23, v4, vcc_lo
	s_andn2_b32 vcc_lo, exec_lo, s28
	global_store_dword v[7:8], v17, off
	global_store_dword v[11:12], v16, off
	;; [unrolled: 1-line block ×3, first 2 shown]
	s_cbranch_vccnz .LBB5_19
; %bb.21:                               ;   in Loop: Header=BB5_20 Depth=1
	global_load_dword v7, v[7:8], off
	s_waitcnt vmcnt(0)
	v_cvt_f16_f32_e32 v7, v7
	global_store_short v[5:6], v7, off
	s_branch .LBB5_19
.LBB5_22:
	s_cbranch_execnz .LBB5_16
.LBB5_23:
	s_endpgm
	.section	.rodata,"a",@progbits
	.p2align	6, 0x0
	.amdhsa_kernel TransformersAmpAdamWContiguous
		.amdhsa_group_segment_fixed_size 0
		.amdhsa_private_segment_fixed_size 0
		.amdhsa_kernarg_size 368
		.amdhsa_user_sgpr_count 6
		.amdhsa_user_sgpr_private_segment_buffer 1
		.amdhsa_user_sgpr_dispatch_ptr 0
		.amdhsa_user_sgpr_queue_ptr 0
		.amdhsa_user_sgpr_kernarg_segment_ptr 1
		.amdhsa_user_sgpr_dispatch_id 0
		.amdhsa_user_sgpr_flat_scratch_init 0
		.amdhsa_user_sgpr_private_segment_size 0
		.amdhsa_wavefront_size32 1
		.amdhsa_uses_dynamic_stack 0
		.amdhsa_system_sgpr_private_segment_wavefront_offset 0
		.amdhsa_system_sgpr_workgroup_id_x 1
		.amdhsa_system_sgpr_workgroup_id_y 0
		.amdhsa_system_sgpr_workgroup_id_z 0
		.amdhsa_system_sgpr_workgroup_info 0
		.amdhsa_system_vgpr_workitem_id 0
		.amdhsa_next_free_vgpr 19
		.amdhsa_next_free_sgpr 31
		.amdhsa_reserve_vcc 1
		.amdhsa_reserve_flat_scratch 0
		.amdhsa_float_round_mode_32 0
		.amdhsa_float_round_mode_16_64 0
		.amdhsa_float_denorm_mode_32 3
		.amdhsa_float_denorm_mode_16_64 3
		.amdhsa_dx10_clamp 1
		.amdhsa_ieee_mode 1
		.amdhsa_fp16_overflow 0
		.amdhsa_workgroup_processor_mode 1
		.amdhsa_memory_ordered 1
		.amdhsa_forward_progress 1
		.amdhsa_shared_vgpr_count 0
		.amdhsa_exception_fp_ieee_invalid_op 0
		.amdhsa_exception_fp_denorm_src 0
		.amdhsa_exception_fp_ieee_div_zero 0
		.amdhsa_exception_fp_ieee_overflow 0
		.amdhsa_exception_fp_ieee_underflow 0
		.amdhsa_exception_fp_ieee_inexact 0
		.amdhsa_exception_int_div_zero 0
	.end_amdhsa_kernel
	.text
.Lfunc_end5:
	.size	TransformersAmpAdamWContiguous, .Lfunc_end5-TransformersAmpAdamWContiguous
                                        ; -- End function
	.set TransformersAmpAdamWContiguous.num_vgpr, 19
	.set TransformersAmpAdamWContiguous.num_agpr, 0
	.set TransformersAmpAdamWContiguous.numbered_sgpr, 31
	.set TransformersAmpAdamWContiguous.num_named_barrier, 0
	.set TransformersAmpAdamWContiguous.private_seg_size, 0
	.set TransformersAmpAdamWContiguous.uses_vcc, 1
	.set TransformersAmpAdamWContiguous.uses_flat_scratch, 0
	.set TransformersAmpAdamWContiguous.has_dyn_sized_stack, 0
	.set TransformersAmpAdamWContiguous.has_recursion, 0
	.set TransformersAmpAdamWContiguous.has_indirect_call, 0
	.section	.AMDGPU.csdata,"",@progbits
; Kernel info:
; codeLenInByte = 1344
; TotalNumSgprs: 33
; NumVgprs: 19
; ScratchSize: 0
; MemoryBound: 0
; FloatMode: 240
; IeeeMode: 1
; LDSByteSize: 0 bytes/workgroup (compile time only)
; SGPRBlocks: 0
; VGPRBlocks: 2
; NumSGPRsForWavesPerEU: 33
; NumVGPRsForWavesPerEU: 19
; Occupancy: 16
; WaveLimiterHint : 0
; COMPUTE_PGM_RSRC2:SCRATCH_EN: 0
; COMPUTE_PGM_RSRC2:USER_SGPR: 6
; COMPUTE_PGM_RSRC2:TRAP_HANDLER: 0
; COMPUTE_PGM_RSRC2:TGID_X_EN: 1
; COMPUTE_PGM_RSRC2:TGID_Y_EN: 0
; COMPUTE_PGM_RSRC2:TGID_Z_EN: 0
; COMPUTE_PGM_RSRC2:TIDIG_COMP_CNT: 0
	.text
	.protected	TransformersAmpAdamWContiguousWithStep ; -- Begin function TransformersAmpAdamWContiguousWithStep
	.globl	TransformersAmpAdamWContiguousWithStep
	.p2align	8
	.type	TransformersAmpAdamWContiguousWithStep,@function
TransformersAmpAdamWContiguousWithStep: ; @TransformersAmpAdamWContiguousWithStep
; %bb.0:
	s_clause 0x1
	s_load_dword s2, s[4:5], 0x8c
	s_load_dwordx2 s[34:35], s[4:5], 0x78
	s_add_u32 s0, s4, 0x80
	s_addc_u32 s1, s5, 0
	s_waitcnt lgkmcnt(0)
	s_and_b32 s33, s2, 0xffff
	s_mov_b32 s2, exec_lo
	v_mad_u64_u32 v[1:2], null, s6, s33, v[0:1]
	v_mov_b32_e32 v2, 0
	v_cmpx_gt_u64_e64 s[34:35], v[1:2]
	s_cbranch_execz .LBB6_26
; %bb.1:
	s_clause 0x1
	s_load_dwordx4 s[24:27], s[4:5], 0x40
	s_load_dwordx16 s[8:23], s[4:5], 0x0
	s_load_dword s36, s[0:1], 0x0
	s_waitcnt lgkmcnt(0)
	s_cmp_eq_u64 s[26:27], 0
	s_cselect_b32 s2, -1, 0
	s_and_b32 vcc_lo, exec_lo, s2
	s_cbranch_vccnz .LBB6_15
; %bb.2:
	v_mov_b32_e32 v4, 0
	global_load_ubyte v3, v4, s[26:27]
	s_waitcnt vmcnt(0)
	v_cmp_ne_u32_e32 vcc_lo, 0, v3
	s_cbranch_vccz .LBB6_25
; %bb.3:
	s_cmp_lt_u32 s6, s36
	s_cselect_b32 s2, 12, 18
	s_add_u32 s0, s0, s2
	s_addc_u32 s1, s1, 0
	global_load_ushort v5, v4, s[0:1]
	s_mov_b32 s1, exec_lo
	s_waitcnt vmcnt(0)
	v_mad_u64_u32 v[6:7], null, s6, v5, v[0:1]
	v_mov_b32_e32 v3, v6
	v_cmpx_gt_u64_e64 s[34:35], v[3:4]
	s_cbranch_execz .LBB6_14
; %bb.4:
	v_mul_lo_u32 v5, s36, v5
	v_lshlrev_b64 v[11:12], 1, v[3:4]
	v_mov_b32_e32 v6, 0
	s_cmp_lg_u64 s[8:9], s[10:11]
	v_lshlrev_b64 v[7:8], 2, v[3:4]
	s_cselect_b32 s2, -1, 0
	s_cmp_lg_u64 s[12:13], 0
	v_add_co_u32 v11, vcc_lo, s12, v11
	s_cselect_b32 s3, -1, 0
	s_cmp_lg_u64 s[16:17], s[18:19]
	v_lshlrev_b64 v[9:10], 2, v[5:6]
	v_lshlrev_b64 v[13:14], 1, v[5:6]
	v_add_co_ci_u32_e64 v12, null, s13, v12, vcc_lo
	s_cselect_b32 s6, -1, 0
	s_cmp_lg_u64 s[20:21], s[22:23]
	s_mov_b32 s26, 0
	s_cselect_b32 s7, -1, 0
	s_branch .LBB6_6
.LBB6_5:                                ;   in Loop: Header=BB6_6 Depth=1
	v_add_co_u32 v3, vcc_lo, v3, v5
	v_add_co_ci_u32_e64 v4, null, 0, v4, vcc_lo
	v_add_co_u32 v7, vcc_lo, v7, v9
	v_add_co_ci_u32_e64 v8, null, v8, v10, vcc_lo
	v_cmp_le_u64_e32 vcc_lo, s[34:35], v[3:4]
	v_add_co_u32 v11, s0, v11, v13
	v_add_co_ci_u32_e64 v12, null, v12, v14, s0
	s_or_b32 s26, vcc_lo, s26
	s_andn2_b32 exec_lo, exec_lo, s26
	s_cbranch_execz .LBB6_14
.LBB6_6:                                ; =>This Inner Loop Header: Depth=1
	s_andn2_b32 vcc_lo, exec_lo, s2
	s_cbranch_vccnz .LBB6_8
; %bb.7:                                ;   in Loop: Header=BB6_6 Depth=1
	v_add_co_u32 v15, vcc_lo, s8, v7
	v_add_co_ci_u32_e64 v16, null, s9, v8, vcc_lo
	global_load_dword v0, v[15:16], off
	v_add_co_u32 v15, vcc_lo, s10, v7
	v_add_co_ci_u32_e64 v16, null, s11, v8, vcc_lo
	s_waitcnt vmcnt(0)
	global_store_dword v[15:16], v0, off
.LBB6_8:                                ;   in Loop: Header=BB6_6 Depth=1
	s_andn2_b32 vcc_lo, exec_lo, s3
	s_cbranch_vccnz .LBB6_10
; %bb.9:                                ;   in Loop: Header=BB6_6 Depth=1
	v_add_co_u32 v15, vcc_lo, s8, v7
	v_add_co_ci_u32_e64 v16, null, s9, v8, vcc_lo
	global_load_dword v0, v[15:16], off
	s_waitcnt vmcnt(0)
	v_cvt_f16_f32_e32 v0, v0
	global_store_short v[11:12], v0, off
.LBB6_10:                               ;   in Loop: Header=BB6_6 Depth=1
	s_andn2_b32 vcc_lo, exec_lo, s6
	s_cbranch_vccnz .LBB6_12
; %bb.11:                               ;   in Loop: Header=BB6_6 Depth=1
	v_add_co_u32 v15, vcc_lo, s16, v7
	v_add_co_ci_u32_e64 v16, null, s17, v8, vcc_lo
	global_load_dword v0, v[15:16], off
	v_add_co_u32 v15, vcc_lo, s18, v7
	v_add_co_ci_u32_e64 v16, null, s19, v8, vcc_lo
	s_waitcnt vmcnt(0)
	global_store_dword v[15:16], v0, off
.LBB6_12:                               ;   in Loop: Header=BB6_6 Depth=1
	s_andn2_b32 vcc_lo, exec_lo, s7
	s_cbranch_vccnz .LBB6_5
; %bb.13:                               ;   in Loop: Header=BB6_6 Depth=1
	v_add_co_u32 v15, vcc_lo, s20, v7
	v_add_co_ci_u32_e64 v16, null, s21, v8, vcc_lo
	global_load_dword v0, v[15:16], off
	v_add_co_u32 v15, vcc_lo, s22, v7
	v_add_co_ci_u32_e64 v16, null, s23, v8, vcc_lo
	s_waitcnt vmcnt(0)
	global_store_dword v[15:16], v0, off
	s_branch .LBB6_5
.LBB6_14:
	s_or_b32 exec_lo, exec_lo, s1
	s_mov_b32 s2, 0
.LBB6_15:
	s_and_b32 vcc_lo, exec_lo, s2
	s_cbranch_vccz .LBB6_26
.LBB6_16:
	s_load_dwordx2 s[2:3], s[4:5], 0x50
	s_cmp_eq_u64 s[24:25], 0
	v_mov_b32_e32 v0, 1.0
	s_cselect_b32 s0, -1, 0
	s_and_b32 vcc_lo, exec_lo, s0
	s_cbranch_vccnz .LBB6_18
; %bb.17:
	v_mov_b32_e32 v0, 0
	global_load_dword v0, v0, s[24:25]
	s_waitcnt vmcnt(0)
	v_cvt_f32_i32_e32 v0, v0
.LBB6_18:
	s_load_dwordx8 s[24:31], s[4:5], 0x58
	s_mov_b32 s7, 0
	s_waitcnt lgkmcnt(0)
	v_cmp_lt_f32_e64 s1, s29, 0
	s_bitcmp1_b32 s30, 0
	s_cselect_b32 s4, -1, 0
	s_and_b32 s4, s1, s4
	s_andn2_b32 vcc_lo, exec_lo, s4
	s_cbranch_vccnz .LBB6_20
; %bb.19:
	v_mov_b32_e32 v3, 0
	v_cmp_neq_f32_e64 vcc_lo, s25, 1.0
	v_cmp_neq_f32_e64 s1, s26, 1.0
	s_mov_b32 s4, 0x968915a9
	s_mov_b32 s30, 0x4222de17
	global_load_dword v3, v3, s[2:3]
	s_mov_b32 s2, 0x55555555
	s_mov_b32 s3, 0x3fe55555
	;; [unrolled: 1-line block ×12, first 2 shown]
	s_waitcnt vmcnt(0)
	v_add_nc_u32_e32 v3, 1, v3
	v_cvt_f64_u32_e32 v[7:8], v3
	v_cvt_f64_f32_e32 v[3:4], s25
	v_cndmask_b32_e32 v6, 0x3ff00000, v8, vcc_lo
	v_cndmask_b32_e32 v5, 0, v7, vcc_lo
	v_cmp_neq_f64_e32 vcc_lo, 0, v[5:6]
	v_cndmask_b32_e32 v4, 0x3ff00000, v4, vcc_lo
	v_cndmask_b32_e32 v3, 0, v3, vcc_lo
	v_frexp_mant_f64_e64 v[9:10], |v[3:4]|
	v_cmp_class_f64_e64 s6, v[3:4], 0x204
	v_cmp_gt_f64_e32 vcc_lo, s[2:3], v[9:10]
	v_cndmask_b32_e64 v11, 0, 1, vcc_lo
	v_ldexp_f64 v[11:12], v[9:10], v11
	v_cndmask_b32_e64 v10, 0x3ff00000, v8, s1
	v_cndmask_b32_e64 v9, 0, v7, s1
	v_cvt_f64_f32_e32 v[7:8], s26
	v_cmp_neq_f64_e64 s1, 0, v[9:10]
	v_add_f64 v[13:14], v[11:12], 1.0
	v_add_f64 v[25:26], v[11:12], -1.0
	v_cndmask_b32_e64 v8, 0x3ff00000, v8, s1
	v_cndmask_b32_e64 v7, 0, v7, s1
	v_frexp_mant_f64_e64 v[17:18], |v[7:8]|
	v_rcp_f64_e32 v[15:16], v[13:14]
	v_cmp_gt_f64_e64 s1, s[2:3], v[17:18]
	v_fma_f64 v[19:20], -v[13:14], v[15:16], 1.0
	v_cndmask_b32_e64 v21, 0, 1, s1
	v_ldexp_f64 v[17:18], v[17:18], v21
	v_fma_f64 v[15:16], v[19:20], v[15:16], v[15:16]
	v_add_f64 v[19:20], v[17:18], 1.0
	v_fma_f64 v[21:22], -v[13:14], v[15:16], 1.0
	v_rcp_f64_e32 v[23:24], v[19:20]
	v_add_f64 v[33:34], v[19:20], -1.0
	v_fma_f64 v[15:16], v[21:22], v[15:16], v[15:16]
	v_fma_f64 v[21:22], -v[19:20], v[23:24], 1.0
	v_mul_f64 v[27:28], v[25:26], v[15:16]
	v_fma_f64 v[21:22], v[21:22], v[23:24], v[23:24]
	v_add_f64 v[23:24], v[13:14], -1.0
	v_mul_f64 v[29:30], v[13:14], v[27:28]
	v_fma_f64 v[31:32], -v[19:20], v[21:22], 1.0
	v_add_f64 v[11:12], v[11:12], -v[23:24]
	v_add_f64 v[23:24], v[17:18], -1.0
	v_add_f64 v[17:18], v[17:18], -v[33:34]
	v_fma_f64 v[13:14], v[27:28], v[13:14], -v[29:30]
	v_fma_f64 v[21:22], v[31:32], v[21:22], v[21:22]
	v_fma_f64 v[11:12], v[27:28], v[11:12], v[13:14]
	v_mul_f64 v[13:14], v[23:24], v[21:22]
	v_add_f64 v[31:32], v[29:30], v[11:12]
	v_mul_f64 v[35:36], v[19:20], v[13:14]
	v_add_f64 v[37:38], v[25:26], -v[31:32]
	v_add_f64 v[29:30], v[31:32], -v[29:30]
	v_fma_f64 v[19:20], v[13:14], v[19:20], -v[35:36]
	v_add_f64 v[25:26], v[25:26], -v[37:38]
	v_add_f64 v[11:12], v[29:30], -v[11:12]
	v_fma_f64 v[17:18], v[13:14], v[17:18], v[19:20]
	v_add_f64 v[19:20], v[25:26], -v[31:32]
	v_add_f64 v[25:26], v[35:36], v[17:18]
	v_add_f64 v[11:12], v[11:12], v[19:20]
	v_add_f64 v[19:20], v[23:24], -v[25:26]
	v_add_f64 v[29:30], v[25:26], -v[35:36]
	v_add_f64 v[11:12], v[37:38], v[11:12]
	v_add_f64 v[23:24], v[23:24], -v[19:20]
	v_mul_f64 v[11:12], v[15:16], v[11:12]
	v_add_f64 v[15:16], v[29:30], -v[17:18]
	v_add_f64 v[17:18], v[23:24], -v[25:26]
	v_add_f64 v[23:24], v[27:28], v[11:12]
	v_add_f64 v[15:16], v[15:16], v[17:18]
	v_add_f64 v[17:18], v[23:24], -v[27:28]
	v_add_f64 v[15:16], v[19:20], v[15:16]
	v_mul_f64 v[19:20], v[23:24], v[23:24]
	v_add_f64 v[11:12], v[11:12], -v[17:18]
	v_mul_f64 v[15:16], v[21:22], v[15:16]
	v_fma_f64 v[17:18], v[23:24], v[23:24], -v[19:20]
	v_add_f64 v[21:22], v[11:12], v[11:12]
	v_add_f64 v[25:26], v[13:14], v[15:16]
	v_fma_f64 v[17:18], v[23:24], v[21:22], v[17:18]
	v_add_f64 v[13:14], v[25:26], -v[13:14]
	v_mul_f64 v[27:28], v[25:26], v[25:26]
	v_add_f64 v[21:22], v[19:20], v[17:18]
	v_add_f64 v[13:14], v[15:16], -v[13:14]
	v_fma_f64 v[29:30], v[25:26], v[25:26], -v[27:28]
	v_fma_f64 v[15:16], v[21:22], s[30:31], s[4:5]
	v_add_f64 v[19:20], v[21:22], -v[19:20]
	v_mul_f64 v[41:42], v[23:24], v[21:22]
	v_add_f64 v[31:32], v[13:14], v[13:14]
	v_fma_f64 v[15:16], v[21:22], v[15:16], s[38:39]
	v_add_f64 v[17:18], v[17:18], -v[19:20]
	v_fma_f64 v[29:30], v[25:26], v[31:32], v[29:30]
	v_fma_f64 v[15:16], v[21:22], v[15:16], s[40:41]
	v_add_f64 v[31:32], v[27:28], v[29:30]
	v_fma_f64 v[15:16], v[21:22], v[15:16], s[42:43]
	v_fma_f64 v[33:34], v[31:32], s[30:31], s[4:5]
	s_mov_b32 s4, 0x1c7792ce
	s_mov_b32 s5, 0x3fcc71c7
	;; [unrolled: 1-line block ×3, first 2 shown]
	v_fma_f64 v[15:16], v[21:22], v[15:16], s[44:45]
	s_mov_b32 s31, 0x3fd24924
	v_add_f64 v[27:28], v[31:32], -v[27:28]
	v_fma_f64 v[33:34], v[31:32], v[33:34], s[38:39]
	s_mov_b32 s38, 0x9999999c
	s_mov_b32 s39, 0x3fd99999
	v_fma_f64 v[15:16], v[21:22], v[15:16], s[4:5]
	v_add_f64 v[27:28], v[29:30], -v[27:28]
	v_fma_f64 v[33:34], v[31:32], v[33:34], s[40:41]
	s_mov_b32 s40, 0x6a5dcb37
	s_mov_b32 s41, 0x3e5ade15
	v_fma_f64 v[15:16], v[21:22], v[15:16], s[30:31]
	v_fma_f64 v[33:34], v[31:32], v[33:34], s[42:43]
	s_mov_b32 s42, 0x7c89e6b0
	s_mov_b32 s43, 0x3efa0199
	v_fma_f64 v[15:16], v[21:22], v[15:16], s[38:39]
	v_fma_f64 v[33:34], v[31:32], v[33:34], s[44:45]
	v_mul_f64 v[35:36], v[21:22], v[15:16]
	v_fma_f64 v[33:34], v[31:32], v[33:34], s[4:5]
	s_mov_b32 s5, 0xbfe55555
	s_mov_b32 s4, s2
	v_fma_f64 v[19:20], v[21:22], v[15:16], -v[35:36]
	v_fma_f64 v[33:34], v[31:32], v[33:34], s[30:31]
	s_mov_b32 s30, 0xd5df274d
	s_mov_b32 s31, 0x3c8543b0
	v_fma_f64 v[15:16], v[17:18], v[15:16], v[19:20]
	v_fma_f64 v[19:20], v[31:32], v[33:34], s[38:39]
	s_mov_b32 s38, 0xfca7ab0c
	s_mov_b32 s39, 0x3e928af3
	v_add_f64 v[33:34], v[35:36], v[15:16]
	v_mul_f64 v[37:38], v[31:32], v[19:20]
	v_add_f64 v[39:40], v[33:34], s[2:3]
	v_add_f64 v[35:36], v[33:34], -v[35:36]
	v_fma_f64 v[29:30], v[31:32], v[19:20], -v[37:38]
	v_add_f64 v[43:44], v[39:40], s[4:5]
	v_add_f64 v[15:16], v[15:16], -v[35:36]
	v_fma_f64 v[35:36], v[21:22], v[23:24], -v[41:42]
	v_fma_f64 v[19:20], v[27:28], v[19:20], v[29:30]
	v_add_f64 v[29:30], v[33:34], -v[43:44]
	v_add_f64 v[15:16], v[15:16], s[30:31]
	v_fma_f64 v[21:22], v[21:22], v[11:12], v[35:36]
	v_mul_f64 v[35:36], v[25:26], v[31:32]
	v_ldexp_f64 v[11:12], v[11:12], 1
	v_add_f64 v[33:34], v[37:38], v[19:20]
	v_add_f64 v[15:16], v[15:16], v[29:30]
	v_fma_f64 v[17:18], v[17:18], v[23:24], v[21:22]
	v_ldexp_f64 v[23:24], v[23:24], 1
	v_add_f64 v[21:22], v[33:34], s[2:3]
	v_add_f64 v[29:30], v[33:34], -v[37:38]
	s_mov_b32 s2, 0xfefa39ef
	s_mov_b32 s3, 0x3fe62e42
	v_add_f64 v[37:38], v[39:40], v[15:16]
	v_add_f64 v[43:44], v[41:42], v[17:18]
	v_add_f64 v[45:46], v[21:22], s[4:5]
	v_add_f64 v[19:20], v[19:20], -v[29:30]
	v_fma_f64 v[29:30], v[31:32], v[25:26], -v[35:36]
	s_mov_b32 s4, 0x3b39803f
	s_mov_b32 s5, 0x3c7abc9e
	v_add_f64 v[39:40], v[39:40], -v[37:38]
	v_mul_f64 v[47:48], v[43:44], v[37:38]
	v_add_f64 v[33:34], v[33:34], -v[45:46]
	v_add_f64 v[19:20], v[19:20], s[30:31]
	v_fma_f64 v[29:30], v[31:32], v[13:14], v[29:30]
	v_add_f64 v[31:32], v[43:44], -v[41:42]
	v_ldexp_f64 v[13:14], v[13:14], 1
	v_add_f64 v[15:16], v[15:16], v[39:40]
	v_fma_f64 v[39:40], v[43:44], v[37:38], -v[47:48]
	s_mov_b32 s30, 0x652b82fe
	s_mov_b32 s31, 0x3ff71547
	v_add_f64 v[19:20], v[19:20], v[33:34]
	v_fma_f64 v[27:28], v[27:28], v[25:26], v[29:30]
	v_add_f64 v[17:18], v[17:18], -v[31:32]
	v_fma_f64 v[15:16], v[43:44], v[15:16], v[39:40]
	v_add_f64 v[29:30], v[21:22], v[19:20]
	v_add_f64 v[31:32], v[35:36], v[27:28]
	v_fma_f64 v[15:16], v[17:18], v[37:38], v[15:16]
	v_frexp_exp_i32_f64_e32 v37, v[3:4]
	v_add_f64 v[17:18], v[21:22], -v[29:30]
	v_mul_f64 v[21:22], v[31:32], v[29:30]
	v_add_f64 v[35:36], v[31:32], -v[35:36]
	v_add_f64 v[33:34], v[47:48], v[15:16]
	v_subrev_co_ci_u32_e64 v37, null, 0, v37, vcc_lo
	v_cvt_f64_i32_e32 v[37:38], v37
	v_add_f64 v[17:18], v[19:20], v[17:18]
	v_fma_f64 v[19:20], v[31:32], v[29:30], -v[21:22]
	v_add_f64 v[27:28], v[27:28], -v[35:36]
	v_add_f64 v[39:40], v[23:24], v[33:34]
	v_add_f64 v[41:42], v[33:34], -v[47:48]
	v_fma_f64 v[17:18], v[31:32], v[17:18], v[19:20]
	v_mul_f64 v[19:20], v[37:38], s[2:3]
	v_add_f64 v[23:24], v[39:40], -v[23:24]
	v_add_f64 v[15:16], v[15:16], -v[41:42]
	v_fma_f64 v[17:18], v[27:28], v[29:30], v[17:18]
	v_fma_f64 v[27:28], v[37:38], s[2:3], -v[19:20]
	v_frexp_exp_i32_f64_e32 v29, v[7:8]
	v_add_f64 v[23:24], v[33:34], -v[23:24]
	v_add_f64 v[11:12], v[11:12], v[15:16]
	v_ldexp_f64 v[15:16], v[25:26], 1
	v_add_f64 v[25:26], v[21:22], v[17:18]
	v_fma_f64 v[27:28], v[37:38], s[4:5], v[27:28]
	v_add_f64 v[11:12], v[11:12], v[23:24]
	v_subrev_co_ci_u32_e64 v23, null, 0, v29, s1
	v_cvt_f64_i32_e32 v[23:24], v23
	v_add_f64 v[29:30], v[15:16], v[25:26]
	v_add_f64 v[21:22], v[25:26], -v[21:22]
	v_add_f64 v[31:32], v[19:20], v[27:28]
	v_add_f64 v[33:34], v[39:40], v[11:12]
	v_mul_f64 v[35:36], v[23:24], s[2:3]
	v_add_f64 v[15:16], v[29:30], -v[15:16]
	v_add_f64 v[17:18], v[17:18], -v[21:22]
	;; [unrolled: 1-line block ×3, first 2 shown]
	v_add_f64 v[21:22], v[31:32], v[33:34]
	v_fma_f64 v[37:38], v[23:24], s[2:3], -v[35:36]
	s_mov_b32 s3, 0xbfe62e42
	v_add_f64 v[15:16], v[25:26], -v[15:16]
	v_add_f64 v[13:14], v[13:14], v[17:18]
	v_add_f64 v[19:20], v[27:28], -v[19:20]
	v_add_f64 v[17:18], v[21:22], -v[31:32]
	v_fma_f64 v[23:24], v[23:24], s[4:5], v[37:38]
	s_mov_b32 s5, 0xbc7abc9e
	v_add_f64 v[13:14], v[13:14], v[15:16]
	v_add_f64 v[15:16], v[33:34], -v[39:40]
	v_add_f64 v[25:26], v[21:22], -v[17:18]
	v_add_f64 v[37:38], v[35:36], v[23:24]
	v_add_f64 v[27:28], v[29:30], v[13:14]
	v_add_f64 v[11:12], v[11:12], -v[15:16]
	v_add_f64 v[15:16], v[33:34], -v[17:18]
	v_add_f64 v[17:18], v[31:32], -v[25:26]
	v_add_f64 v[35:36], v[37:38], -v[35:36]
	v_add_f64 v[25:26], v[37:38], v[27:28]
	v_add_f64 v[31:32], v[19:20], v[11:12]
	v_add_f64 v[29:30], v[27:28], -v[29:30]
	v_add_f64 v[15:16], v[15:16], v[17:18]
	v_add_f64 v[23:24], v[23:24], -v[35:36]
	v_add_f64 v[17:18], v[25:26], -v[37:38]
	;; [unrolled: 1-line block ×4, first 2 shown]
	v_add_f64 v[15:16], v[31:32], v[15:16]
	v_add_f64 v[39:40], v[25:26], -v[17:18]
	v_add_f64 v[31:32], v[31:32], -v[33:34]
	;; [unrolled: 1-line block ×4, first 2 shown]
	v_add_f64 v[41:42], v[21:22], v[15:16]
	v_add_f64 v[29:30], v[23:24], v[13:14]
	v_add_f64 v[27:28], v[37:38], -v[39:40]
	v_add_f64 v[19:20], v[19:20], -v[31:32]
	;; [unrolled: 1-line block ×3, first 2 shown]
	v_add_f64 v[17:18], v[17:18], v[27:28]
	v_add_f64 v[11:12], v[11:12], v[19:20]
	v_add_f64 v[19:20], v[29:30], -v[23:24]
	v_add_f64 v[15:16], v[15:16], -v[21:22]
	v_add_f64 v[17:18], v[29:30], v[17:18]
	v_add_f64 v[13:14], v[13:14], -v[19:20]
	v_add_f64 v[11:12], v[11:12], v[15:16]
	;; [unrolled: 2-line block ×3, first 2 shown]
	v_add_f64 v[27:28], v[41:42], v[11:12]
	v_add_f64 v[15:16], v[23:24], -v[15:16]
	v_add_f64 v[19:20], v[21:22], -v[25:26]
	;; [unrolled: 1-line block ×3, first 2 shown]
	v_mul_f64 v[25:26], v[5:6], v[27:28]
	v_add_f64 v[13:14], v[13:14], v[15:16]
	v_add_f64 v[15:16], v[17:18], -v[19:20]
	v_add_f64 v[11:12], v[11:12], -v[23:24]
	v_fma_f64 v[17:18], v[5:6], v[27:28], -v[25:26]
	v_cmp_class_f64_e64 vcc_lo, v[25:26], 0x204
	v_add_f64 v[13:14], v[13:14], v[15:16]
	v_fma_f64 v[11:12], v[5:6], v[11:12], v[17:18]
	v_add_f64 v[15:16], v[21:22], v[13:14]
	v_add_f64 v[17:18], v[25:26], v[11:12]
	v_add_f64 v[19:20], v[15:16], -v[21:22]
	v_mul_f64 v[21:22], v[9:10], v[15:16]
	v_cndmask_b32_e32 v24, v18, v26, vcc_lo
	v_cndmask_b32_e32 v23, v17, v25, vcc_lo
	v_add_f64 v[17:18], v[17:18], -v[25:26]
	v_mul_f64 v[27:28], v[23:24], s[30:31]
	v_cmp_nlt_f64_e64 s1, 0x40900000, v[23:24]
	v_add_f64 v[13:14], v[13:14], -v[19:20]
	v_fma_f64 v[15:16], v[9:10], v[15:16], -v[21:22]
	v_cmp_class_f64_e64 vcc_lo, v[21:22], 0x204
	v_add_f64 v[11:12], v[11:12], -v[17:18]
	v_rndne_f64_e32 v[19:20], v[27:28]
	v_fma_f64 v[13:14], v[9:10], v[13:14], v[15:16]
	v_fma_f64 v[15:16], v[19:20], s[2:3], v[23:24]
	v_cvt_i32_f64_e32 v39, v[19:20]
	v_add_f64 v[27:28], v[21:22], v[13:14]
	v_fma_f64 v[15:16], v[19:20], s[4:5], v[15:16]
	v_cndmask_b32_e32 v30, v28, v22, vcc_lo
	v_cndmask_b32_e32 v29, v27, v21, vcc_lo
	v_cmp_neq_f64_e64 vcc_lo, 0x7ff00000, |v[23:24]|
	v_mul_f64 v[31:32], v[29:30], s[30:31]
	s_mov_b32 s30, 0x623fde64
	s_mov_b32 s31, 0x3ec71dee
	v_fma_f64 v[33:34], v[15:16], s[40:41], s[38:39]
	v_cndmask_b32_e32 v12, 0, v12, vcc_lo
	v_cndmask_b32_e32 v11, 0, v11, vcc_lo
	v_rndne_f64_e32 v[31:32], v[31:32]
	v_fma_f64 v[33:34], v[15:16], v[33:34], s[30:31]
	v_fma_f64 v[35:36], v[31:32], s[2:3], v[29:30]
	s_mov_b32 s2, 0x14761f6e
	s_mov_b32 s3, 0x3f2a01a0
	v_fma_f64 v[33:34], v[15:16], v[33:34], s[42:43]
	v_fma_f64 v[35:36], v[31:32], s[4:5], v[35:36]
	s_mov_b32 s4, 0x1852b7b0
	s_mov_b32 s5, 0x3f56c16c
	;; [unrolled: 4-line block ×3, first 2 shown]
	s_mov_b32 s40, 0x55555511
	v_fma_f64 v[33:34], v[15:16], v[33:34], s[4:5]
	s_mov_b32 s41, 0x3fc55555
	v_fma_f64 v[37:38], v[35:36], v[37:38], s[30:31]
	s_mov_b32 s30, 0x555502a1
	s_mov_b32 s31, 0x3fa55555
	v_fma_f64 v[33:34], v[15:16], v[33:34], s[38:39]
	v_fma_f64 v[37:38], v[35:36], v[37:38], s[42:43]
	;; [unrolled: 1-line block ×4, first 2 shown]
	s_mov_b32 s2, 11
	s_mov_b32 s3, 0x3fe00000
	v_fma_f64 v[33:34], v[15:16], v[33:34], s[40:41]
	v_fma_f64 v[37:38], v[35:36], v[37:38], s[4:5]
	v_cmp_nlt_f64_e64 s4, 0x40900000, v[29:30]
	v_cmp_ngt_f64_e64 s5, 0xc090cc00, v[29:30]
	v_fma_f64 v[33:34], v[15:16], v[33:34], s[2:3]
	v_fma_f64 v[37:38], v[35:36], v[37:38], s[38:39]
	v_fma_f64 v[33:34], v[15:16], v[33:34], 1.0
	v_fma_f64 v[37:38], v[35:36], v[37:38], s[30:31]
	v_fma_f64 v[15:16], v[15:16], v[33:34], 1.0
	v_trunc_f64_e32 v[33:34], v[5:6]
	v_fma_f64 v[19:20], v[35:36], v[37:38], s[40:41]
	v_ldexp_f64 v[15:16], v[15:16], v39
	v_fma_f64 v[17:18], v[35:36], v[19:20], s[2:3]
	v_cmp_ngt_f64_e64 s2, 0xc090cc00, v[23:24]
	v_mul_f64 v[19:20], v[5:6], 0.5
	v_cmp_eq_f64_e64 s3, 0, v[3:4]
	v_cndmask_b32_e64 v25, 0x7ff00000, v16, s1
	v_fma_f64 v[16:17], v[35:36], v[17:18], 1.0
	v_cndmask_b32_e64 v24, 0, v25, s2
	v_trunc_f64_e32 v[25:26], v[19:20]
	s_and_b32 vcc_lo, s2, s1
	v_cmp_eq_f64_e64 s2, v[33:34], v[5:6]
	v_cndmask_b32_e32 v23, 0, v15, vcc_lo
	v_add_f64 v[5:6], v[27:28], -v[21:22]
	v_cvt_i32_f64_e32 v18, v[31:32]
	v_fma_f64 v[11:12], v[23:24], v[11:12], v[23:24]
	v_cmp_class_f64_e64 s1, v[23:24], 0x204
	v_fma_f64 v[15:16], v[35:36], v[16:17], 1.0
	v_cmp_neq_f64_e32 vcc_lo, v[25:26], v[19:20]
	v_add_f64 v[5:6], v[13:14], -v[5:6]
	v_cndmask_b32_e64 v17, v11, v23, s1
	v_cndmask_b32_e64 v11, v12, v24, s1
	v_cmp_neq_f64_e64 s1, 0x7ff00000, |v[29:30]|
	v_ldexp_f64 v[15:16], v[15:16], v18
	v_cndmask_b32_e64 v18, 0, v17, s2
	s_and_b32 vcc_lo, s2, vcc_lo
	v_cndmask_b32_e32 v12, 0x3ff00000, v4, vcc_lo
	v_bfi_b32 v19, 0x7fffffff, v11, v12
	v_mul_f64 v[11:12], v[9:10], 0.5
	v_cndmask_b32_e64 v6, 0, v6, s1
	v_cndmask_b32_e64 v13, 0x7ff80000, v19, s2
	v_cmp_gt_f64_e64 s2, 0, v[3:4]
	v_cndmask_b32_e64 v5, 0, v5, s1
	s_or_b32 s1, s3, s6
	v_cndmask_b32_e64 v14, 0x7ff00000, v16, s4
	v_cndmask_b32_e64 v14, 0, v14, s5
	;; [unrolled: 1-line block ×4, first 2 shown]
	s_and_b32 s2, s3, exec_lo
	s_cselect_b32 s6, 0, 0x7ff00000
	s_and_b32 s2, s5, s4
	v_trunc_f64_e32 v[17:18], v[9:10]
	v_cndmask_b32_e64 v13, 0, v15, s2
	v_trunc_f64_e32 v[15:16], v[11:12]
	v_cmp_class_f64_e64 s5, v[7:8], 0x204
	v_fma_f64 v[5:6], v[13:14], v[5:6], v[13:14]
	v_cmp_class_f64_e64 s3, v[13:14], 0x204
	v_cmp_eq_f64_e64 s4, v[17:18], v[9:10]
	v_cmp_neq_f64_e64 s2, v[15:16], v[11:12]
	v_cndmask_b32_e64 v6, v6, v14, s3
	v_cndmask_b32_e64 v5, v5, v13, s3
	v_cmp_gt_f64_e64 s3, 0, v[7:8]
	v_cndmask_b32_e64 v9, 0, v5, s4
	s_and_b32 s2, s4, s2
	v_cndmask_b32_e64 v10, 0x3ff00000, v8, s2
	v_cndmask_b32_e64 v11, 0, v8, s2
	v_bfi_b32 v6, 0x7fffffff, v6, v10
	v_cndmask_b32_e64 v5, v5, v9, s3
	v_cndmask_b32_e64 v10, 0x7ff80000, v6, s4
	v_cmp_eq_f64_e64 s4, 0, v[7:8]
	v_cndmask_b32_e64 v6, v6, v10, s3
	s_or_b32 s2, s4, s5
	s_and_b32 s3, s4, exec_lo
	s_cselect_b32 s3, 0, 0x7ff00000
	v_cndmask_b32_e64 v5, v5, 0, s2
	v_bfi_b32 v9, 0x7fffffff, s3, v11
	v_cndmask_b32_e64 v6, v6, v9, s2
	v_cmp_o_f64_e64 s2, v[7:8], v[7:8]
	v_add_f64 v[5:6], -v[5:6], 1.0
	v_cndmask_b32_e64 v6, 0x7ff80000, v6, s2
	v_cndmask_b32_e64 v5, 0, v5, s2
	v_cvt_f32_f64_e32 v6, v[5:6]
	v_cndmask_b32_e32 v5, 0, v4, vcc_lo
	v_bfi_b32 v8, 0x7fffffff, s6, v5
	v_cndmask_b32_e64 v5, v20, 0, s1
	v_mul_f32_e32 v7, 0x4f800000, v6
	v_cmp_gt_f32_e32 vcc_lo, 0xf800000, v6
	v_cndmask_b32_e32 v7, v6, v7, vcc_lo
	v_cndmask_b32_e64 v6, v19, v8, s1
	v_cmp_o_f64_e64 s1, v[3:4], v[3:4]
	v_sqrt_f32_e32 v8, v7
	v_add_f64 v[5:6], -v[5:6], 1.0
	v_add_nc_u32_e32 v3, -1, v8
	v_add_nc_u32_e32 v9, 1, v8
	v_fma_f32 v4, -v3, v8, v7
	v_fma_f32 v10, -v9, v8, v7
	v_cmp_ge_f32_e64 s2, 0, v4
	v_cndmask_b32_e64 v4, 0x7ff80000, v6, s1
	v_cndmask_b32_e64 v8, v8, v3, s2
	;; [unrolled: 1-line block ×3, first 2 shown]
	v_cmp_lt_f32_e64 s1, 0, v10
	v_cvt_f32_f64_e32 v3, v[3:4]
	v_cndmask_b32_e64 v5, v8, v9, s1
	v_mul_f32_e32 v4, 0x37800000, v5
	v_cndmask_b32_e32 v4, v5, v4, vcc_lo
	v_cmp_class_f32_e64 vcc_lo, v7, 0x260
	v_cndmask_b32_e32 v4, v4, v7, vcc_lo
	v_mul_f32_e32 v4, s24, v4
	v_div_scale_f32 v5, null, v3, v3, v4
	v_rcp_f32_e32 v6, v5
	v_fma_f32 v7, -v5, v6, 1.0
	v_fmac_f32_e32 v6, v7, v6
	v_div_scale_f32 v7, vcc_lo, v4, v3, v4
	v_mul_f32_e32 v8, v7, v6
	v_fma_f32 v9, -v5, v8, v7
	v_fmac_f32_e32 v8, v9, v6
	v_fma_f32 v5, -v5, v8, v7
	v_div_fmas_f32 v5, v5, v6, v8
	v_div_fixup_f32 v9, v5, v3, v4
	s_branch .LBB6_21
.LBB6_20:
	v_mov_b32_e32 v3, s24
	v_cndmask_b32_e64 v9, s29, v3, s1
.LBB6_21:
	v_lshlrev_b64 v[3:4], 1, v[1:2]
	v_lshlrev_b64 v[5:6], 2, v[1:2]
	v_sub_f32_e64 v10, 1.0, s25
	v_sub_f32_e64 v11, 1.0, s26
	s_mul_i32 s6, s36, s33
	s_cmp_lg_u64 s[12:13], 0
	v_add_co_u32 v3, vcc_lo, s12, v3
	v_add_co_ci_u32_e64 v4, null, s13, v4, vcc_lo
	s_cselect_b32 s12, -1, 0
	s_lshl_b64 s[2:3], s[6:7], 1
	s_lshl_b64 s[4:5], s[6:7], 2
	s_branch .LBB6_23
.LBB6_22:                               ;   in Loop: Header=BB6_23 Depth=1
	v_add_co_u32 v1, vcc_lo, v1, s6
	v_add_co_ci_u32_e64 v2, null, 0, v2, vcc_lo
	v_add_co_u32 v3, vcc_lo, v3, s2
	v_add_co_ci_u32_e64 v4, null, s3, v4, vcc_lo
	v_cmp_le_u64_e32 vcc_lo, s[34:35], v[1:2]
	v_add_co_u32 v5, s1, v5, s4
	v_add_co_ci_u32_e64 v6, null, s5, v6, s1
	s_or_b32 s7, vcc_lo, s7
	s_andn2_b32 exec_lo, exec_lo, s7
	s_cbranch_execz .LBB6_26
.LBB6_23:                               ; =>This Inner Loop Header: Depth=1
	v_add_co_u32 v7, vcc_lo, s14, v5
	v_add_co_ci_u32_e64 v8, null, s15, v6, vcc_lo
	global_load_dword v12, v[7:8], off
	v_add_co_u32 v7, vcc_lo, s20, v5
	v_add_co_ci_u32_e64 v8, null, s21, v6, vcc_lo
	global_load_dword v13, v[7:8], off
	;; [unrolled: 3-line block ×4, first 2 shown]
	s_waitcnt vmcnt(3)
	v_div_scale_f32 v7, null, v0, v0, v12
	v_div_scale_f32 v17, vcc_lo, v12, v0, v12
	v_rcp_f32_e32 v8, v7
	v_fma_f32 v16, -v7, v8, 1.0
	v_fmac_f32_e32 v8, v16, v8
	v_mul_f32_e32 v16, v17, v8
	v_fma_f32 v18, -v7, v16, v17
	v_fmac_f32_e32 v16, v18, v8
	v_fma_f32 v7, -v7, v16, v17
	v_div_fmas_f32 v7, v7, v8, v16
	s_waitcnt vmcnt(2)
	v_mul_f32_e32 v16, s26, v13
	v_div_fixup_f32 v7, v7, v0, v12
	v_cndmask_b32_e64 v7, v7, v12, s0
	v_mul_f32_e32 v8, v7, v7
	v_fmac_f32_e32 v16, v11, v8
	v_mul_f32_e32 v8, 0x4f800000, v16
	v_cmp_gt_f32_e32 vcc_lo, 0xf800000, v16
	v_cndmask_b32_e32 v8, v16, v8, vcc_lo
	v_sqrt_f32_e32 v12, v8
	v_add_nc_u32_e32 v13, -1, v12
	v_add_nc_u32_e32 v17, 1, v12
	v_fma_f32 v18, -v13, v12, v8
	v_fma_f32 v19, -v17, v12, v8
	v_cmp_ge_f32_e64 s1, 0, v18
	v_cndmask_b32_e64 v12, v12, v13, s1
	v_cmp_lt_f32_e64 s1, 0, v19
	v_cndmask_b32_e64 v12, v12, v17, s1
	s_waitcnt vmcnt(1)
	v_mul_f32_e32 v17, s25, v14
	v_mul_f32_e32 v13, 0x37800000, v12
	v_fmac_f32_e32 v17, v10, v7
	v_cndmask_b32_e32 v12, v12, v13, vcc_lo
	v_cmp_class_f32_e64 vcc_lo, v8, 0x260
	v_cndmask_b32_e32 v7, v12, v8, vcc_lo
	v_mul_f32_e32 v8, v9, v17
	v_add_f32_e32 v7, s27, v7
	v_div_scale_f32 v12, null, v7, v7, v8
	v_div_scale_f32 v18, vcc_lo, v8, v7, v8
	v_rcp_f32_e32 v13, v12
	v_fma_f32 v14, -v12, v13, 1.0
	v_fmac_f32_e32 v13, v14, v13
	v_mul_f32_e32 v14, v18, v13
	v_fma_f32 v19, -v12, v14, v18
	v_fmac_f32_e32 v14, v19, v13
	v_fma_f32 v12, -v12, v14, v18
	v_div_fmas_f32 v12, v12, v13, v14
	v_div_fixup_f32 v12, v12, v7, v8
	v_add_co_u32 v7, vcc_lo, s10, v5
	v_add_co_ci_u32_e64 v8, null, s11, v6, vcc_lo
	s_waitcnt vmcnt(0)
	v_sub_f32_e32 v14, v15, v12
	v_add_co_u32 v12, vcc_lo, s18, v5
	v_add_co_ci_u32_e64 v13, null, s19, v6, vcc_lo
	v_fma_f32 v18, -s28, v14, v14
	v_add_co_u32 v14, vcc_lo, s22, v5
	v_add_co_ci_u32_e64 v15, null, s23, v6, vcc_lo
	s_andn2_b32 vcc_lo, exec_lo, s12
	global_store_dword v[7:8], v18, off
	global_store_dword v[12:13], v17, off
	;; [unrolled: 1-line block ×3, first 2 shown]
	s_cbranch_vccnz .LBB6_22
; %bb.24:                               ;   in Loop: Header=BB6_23 Depth=1
	global_load_dword v7, v[7:8], off
	s_waitcnt vmcnt(0)
	v_cvt_f16_f32_e32 v7, v7
	global_store_short v[3:4], v7, off
	s_branch .LBB6_22
.LBB6_25:
	s_cbranch_execnz .LBB6_16
.LBB6_26:
	s_endpgm
	.section	.rodata,"a",@progbits
	.p2align	6, 0x0
	.amdhsa_kernel TransformersAmpAdamWContiguousWithStep
		.amdhsa_group_segment_fixed_size 0
		.amdhsa_private_segment_fixed_size 0
		.amdhsa_kernarg_size 384
		.amdhsa_user_sgpr_count 6
		.amdhsa_user_sgpr_private_segment_buffer 1
		.amdhsa_user_sgpr_dispatch_ptr 0
		.amdhsa_user_sgpr_queue_ptr 0
		.amdhsa_user_sgpr_kernarg_segment_ptr 1
		.amdhsa_user_sgpr_dispatch_id 0
		.amdhsa_user_sgpr_flat_scratch_init 0
		.amdhsa_user_sgpr_private_segment_size 0
		.amdhsa_wavefront_size32 1
		.amdhsa_uses_dynamic_stack 0
		.amdhsa_system_sgpr_private_segment_wavefront_offset 0
		.amdhsa_system_sgpr_workgroup_id_x 1
		.amdhsa_system_sgpr_workgroup_id_y 0
		.amdhsa_system_sgpr_workgroup_id_z 0
		.amdhsa_system_sgpr_workgroup_info 0
		.amdhsa_system_vgpr_workitem_id 0
		.amdhsa_next_free_vgpr 49
		.amdhsa_next_free_sgpr 46
		.amdhsa_reserve_vcc 1
		.amdhsa_reserve_flat_scratch 0
		.amdhsa_float_round_mode_32 0
		.amdhsa_float_round_mode_16_64 0
		.amdhsa_float_denorm_mode_32 3
		.amdhsa_float_denorm_mode_16_64 3
		.amdhsa_dx10_clamp 1
		.amdhsa_ieee_mode 1
		.amdhsa_fp16_overflow 0
		.amdhsa_workgroup_processor_mode 1
		.amdhsa_memory_ordered 1
		.amdhsa_forward_progress 1
		.amdhsa_shared_vgpr_count 0
		.amdhsa_exception_fp_ieee_invalid_op 0
		.amdhsa_exception_fp_denorm_src 0
		.amdhsa_exception_fp_ieee_div_zero 0
		.amdhsa_exception_fp_ieee_overflow 0
		.amdhsa_exception_fp_ieee_underflow 0
		.amdhsa_exception_fp_ieee_inexact 0
		.amdhsa_exception_int_div_zero 0
	.end_amdhsa_kernel
	.text
.Lfunc_end6:
	.size	TransformersAmpAdamWContiguousWithStep, .Lfunc_end6-TransformersAmpAdamWContiguousWithStep
                                        ; -- End function
	.set TransformersAmpAdamWContiguousWithStep.num_vgpr, 49
	.set TransformersAmpAdamWContiguousWithStep.num_agpr, 0
	.set TransformersAmpAdamWContiguousWithStep.numbered_sgpr, 46
	.set TransformersAmpAdamWContiguousWithStep.num_named_barrier, 0
	.set TransformersAmpAdamWContiguousWithStep.private_seg_size, 0
	.set TransformersAmpAdamWContiguousWithStep.uses_vcc, 1
	.set TransformersAmpAdamWContiguousWithStep.uses_flat_scratch, 0
	.set TransformersAmpAdamWContiguousWithStep.has_dyn_sized_stack, 0
	.set TransformersAmpAdamWContiguousWithStep.has_recursion, 0
	.set TransformersAmpAdamWContiguousWithStep.has_indirect_call, 0
	.section	.AMDGPU.csdata,"",@progbits
; Kernel info:
; codeLenInByte = 4888
; TotalNumSgprs: 48
; NumVgprs: 49
; ScratchSize: 0
; MemoryBound: 0
; FloatMode: 240
; IeeeMode: 1
; LDSByteSize: 0 bytes/workgroup (compile time only)
; SGPRBlocks: 0
; VGPRBlocks: 6
; NumSGPRsForWavesPerEU: 48
; NumVGPRsForWavesPerEU: 49
; Occupancy: 16
; WaveLimiterHint : 0
; COMPUTE_PGM_RSRC2:SCRATCH_EN: 0
; COMPUTE_PGM_RSRC2:USER_SGPR: 6
; COMPUTE_PGM_RSRC2:TRAP_HANDLER: 0
; COMPUTE_PGM_RSRC2:TGID_X_EN: 1
; COMPUTE_PGM_RSRC2:TGID_Y_EN: 0
; COMPUTE_PGM_RSRC2:TGID_Z_EN: 0
; COMPUTE_PGM_RSRC2:TIDIG_COMP_CNT: 0
	.text
	.p2alignl 6, 3214868480
	.fill 48, 4, 3214868480
	.section	.AMDGPU.gpr_maximums,"",@progbits
	.set amdgpu.max_num_vgpr, 0
	.set amdgpu.max_num_agpr, 0
	.set amdgpu.max_num_sgpr, 0
	.text
	.type	__hip_cuid_445c5e2704b6c138,@object ; @__hip_cuid_445c5e2704b6c138
	.section	.bss,"aw",@nobits
	.globl	__hip_cuid_445c5e2704b6c138
__hip_cuid_445c5e2704b6c138:
	.byte	0                               ; 0x0
	.size	__hip_cuid_445c5e2704b6c138, 1

	.ident	"AMD clang version 22.0.0git (https://github.com/RadeonOpenCompute/llvm-project roc-7.2.4 26084 f58b06dce1f9c15707c5f808fd002e18c2accf7e)"
	.section	".note.GNU-stack","",@progbits
	.addrsig
	.addrsig_sym __hip_cuid_445c5e2704b6c138
	.amdgpu_metadata
---
amdhsa.kernels:
  - .args:
      - .address_space:  global
        .offset:         0
        .size:           8
        .value_kind:     global_buffer
      - .address_space:  global
        .offset:         8
        .size:           8
        .value_kind:     global_buffer
      - .address_space:  global
        .offset:         16
        .size:           8
        .value_kind:     global_buffer
      - .address_space:  global
        .offset:         24
        .size:           8
        .value_kind:     global_buffer
      - .address_space:  global
        .offset:         32
        .size:           8
        .value_kind:     global_buffer
      - .address_space:  global
        .offset:         40
        .size:           8
        .value_kind:     global_buffer
      - .address_space:  global
        .offset:         48
        .size:           8
        .value_kind:     global_buffer
      - .address_space:  global
        .offset:         56
        .size:           8
        .value_kind:     global_buffer
      - .address_space:  global
        .offset:         64
        .size:           8
        .value_kind:     global_buffer
      - .offset:         72
        .size:           4
        .value_kind:     by_value
      - .offset:         76
        .size:           4
        .value_kind:     by_value
      - .offset:         80
        .size:           4
        .value_kind:     by_value
      - .offset:         84
        .size:           4
        .value_kind:     by_value
      - .offset:         88
        .size:           4
        .value_kind:     by_value
      - .offset:         92
        .size:           4
        .value_kind:     by_value
      - .offset:         96
        .size:           1
        .value_kind:     by_value
      - .offset:         97
        .size:           1
        .value_kind:     by_value
      - .offset:         98
        .size:           1
        .value_kind:     by_value
      - .offset:         104
        .size:           8
        .value_kind:     by_value
      - .offset:         112
        .size:           4
        .value_kind:     hidden_block_count_x
      - .offset:         116
        .size:           4
        .value_kind:     hidden_block_count_y
      - .offset:         120
        .size:           4
        .value_kind:     hidden_block_count_z
      - .offset:         124
        .size:           2
        .value_kind:     hidden_group_size_x
      - .offset:         126
        .size:           2
        .value_kind:     hidden_group_size_y
      - .offset:         128
        .size:           2
        .value_kind:     hidden_group_size_z
      - .offset:         130
        .size:           2
        .value_kind:     hidden_remainder_x
      - .offset:         132
        .size:           2
        .value_kind:     hidden_remainder_y
      - .offset:         134
        .size:           2
        .value_kind:     hidden_remainder_z
      - .offset:         152
        .size:           8
        .value_kind:     hidden_global_offset_x
      - .offset:         160
        .size:           8
        .value_kind:     hidden_global_offset_y
      - .offset:         168
        .size:           8
        .value_kind:     hidden_global_offset_z
      - .offset:         176
        .size:           2
        .value_kind:     hidden_grid_dims
    .group_segment_fixed_size: 0
    .kernarg_segment_align: 8
    .kernarg_segment_size: 368
    .language:       OpenCL C
    .language_version:
      - 2
      - 0
    .max_flat_workgroup_size: 1024
    .name:           AdamContiguous
    .private_segment_fixed_size: 0
    .sgpr_count:     38
    .sgpr_spill_count: 0
    .symbol:         AdamContiguous.kd
    .uniform_work_group_size: 1
    .uses_dynamic_stack: false
    .vgpr_count:     52
    .vgpr_spill_count: 0
    .wavefront_size: 32
    .workgroup_processor_mode: 1
  - .args:
      - .address_space:  global
        .offset:         0
        .size:           8
        .value_kind:     global_buffer
      - .address_space:  global
        .offset:         8
        .size:           8
        .value_kind:     global_buffer
      - .address_space:  global
        .offset:         16
        .size:           8
        .value_kind:     global_buffer
      - .address_space:  global
        .offset:         24
        .size:           8
        .value_kind:     global_buffer
      - .address_space:  global
        .offset:         32
        .size:           8
        .value_kind:     global_buffer
      - .address_space:  global
        .offset:         40
        .size:           8
        .value_kind:     global_buffer
      - .address_space:  global
        .offset:         48
        .size:           8
        .value_kind:     global_buffer
      - .address_space:  global
        .offset:         56
        .size:           8
        .value_kind:     global_buffer
      - .address_space:  global
        .offset:         64
        .size:           8
        .value_kind:     global_buffer
      - .address_space:  global
        .offset:         72
        .size:           8
        .value_kind:     global_buffer
      - .address_space:  global
        .offset:         80
        .size:           8
        .value_kind:     global_buffer
      - .address_space:  global
        .offset:         88
        .size:           8
        .value_kind:     global_buffer
      - .address_space:  global
        .offset:         96
        .size:           8
        .value_kind:     global_buffer
      - .offset:         104
        .size:           4
        .value_kind:     by_value
      - .offset:         108
        .size:           4
        .value_kind:     by_value
      - .offset:         112
        .size:           4
        .value_kind:     by_value
      - .offset:         116
        .size:           4
        .value_kind:     by_value
      - .offset:         120
        .size:           4
        .value_kind:     by_value
      - .offset:         124
        .size:           1
        .value_kind:     by_value
      - .offset:         125
        .size:           1
        .value_kind:     by_value
      - .offset:         126
        .size:           1
        .value_kind:     by_value
      - .offset:         128
        .size:           8
        .value_kind:     by_value
      - .offset:         136
        .size:           4
        .value_kind:     hidden_block_count_x
      - .offset:         140
        .size:           4
        .value_kind:     hidden_block_count_y
      - .offset:         144
        .size:           4
        .value_kind:     hidden_block_count_z
      - .offset:         148
        .size:           2
        .value_kind:     hidden_group_size_x
      - .offset:         150
        .size:           2
        .value_kind:     hidden_group_size_y
      - .offset:         152
        .size:           2
        .value_kind:     hidden_group_size_z
      - .offset:         154
        .size:           2
        .value_kind:     hidden_remainder_x
      - .offset:         156
        .size:           2
        .value_kind:     hidden_remainder_y
      - .offset:         158
        .size:           2
        .value_kind:     hidden_remainder_z
      - .offset:         176
        .size:           8
        .value_kind:     hidden_global_offset_x
      - .offset:         184
        .size:           8
        .value_kind:     hidden_global_offset_y
      - .offset:         192
        .size:           8
        .value_kind:     hidden_global_offset_z
      - .offset:         200
        .size:           2
        .value_kind:     hidden_grid_dims
    .group_segment_fixed_size: 0
    .kernarg_segment_align: 8
    .kernarg_segment_size: 392
    .language:       OpenCL C
    .language_version:
      - 2
      - 0
    .max_flat_workgroup_size: 1024
    .name:           AmpAdamContiguousWithStep
    .private_segment_fixed_size: 0
    .sgpr_count:     63
    .sgpr_spill_count: 0
    .symbol:         AmpAdamContiguousWithStep.kd
    .uniform_work_group_size: 1
    .uses_dynamic_stack: false
    .vgpr_count:     53
    .vgpr_spill_count: 0
    .wavefront_size: 32
    .workgroup_processor_mode: 1
  - .args:
      - .address_space:  global
        .offset:         0
        .size:           8
        .value_kind:     global_buffer
      - .address_space:  global
        .offset:         8
        .size:           8
        .value_kind:     global_buffer
      - .address_space:  global
        .offset:         16
        .size:           8
        .value_kind:     global_buffer
      - .address_space:  global
        .offset:         24
        .size:           8
        .value_kind:     global_buffer
      - .address_space:  global
        .offset:         32
        .size:           8
        .value_kind:     global_buffer
      - .address_space:  global
        .offset:         40
        .size:           8
        .value_kind:     global_buffer
      - .address_space:  global
        .offset:         48
        .size:           8
        .value_kind:     global_buffer
      - .address_space:  global
        .offset:         56
        .size:           8
        .value_kind:     global_buffer
      - .address_space:  global
        .offset:         64
        .size:           8
        .value_kind:     global_buffer
      - .address_space:  global
        .offset:         72
        .size:           8
        .value_kind:     global_buffer
      - .address_space:  global
        .offset:         80
        .size:           8
        .value_kind:     global_buffer
      - .address_space:  global
        .offset:         88
        .size:           8
        .value_kind:     global_buffer
      - .offset:         96
        .size:           4
        .value_kind:     by_value
      - .offset:         100
        .size:           4
        .value_kind:     by_value
      - .offset:         104
        .size:           4
        .value_kind:     by_value
      - .offset:         108
        .size:           4
        .value_kind:     by_value
      - .offset:         112
        .size:           4
        .value_kind:     by_value
      - .offset:         116
        .size:           4
        .value_kind:     by_value
      - .offset:         120
        .size:           1
        .value_kind:     by_value
      - .offset:         121
        .size:           1
        .value_kind:     by_value
      - .offset:         122
        .size:           1
        .value_kind:     by_value
      - .offset:         128
        .size:           8
        .value_kind:     by_value
      - .offset:         136
        .size:           4
        .value_kind:     hidden_block_count_x
      - .offset:         140
        .size:           4
        .value_kind:     hidden_block_count_y
      - .offset:         144
        .size:           4
        .value_kind:     hidden_block_count_z
      - .offset:         148
        .size:           2
        .value_kind:     hidden_group_size_x
      - .offset:         150
        .size:           2
        .value_kind:     hidden_group_size_y
      - .offset:         152
        .size:           2
        .value_kind:     hidden_group_size_z
      - .offset:         154
        .size:           2
        .value_kind:     hidden_remainder_x
      - .offset:         156
        .size:           2
        .value_kind:     hidden_remainder_y
      - .offset:         158
        .size:           2
        .value_kind:     hidden_remainder_z
      - .offset:         176
        .size:           8
        .value_kind:     hidden_global_offset_x
      - .offset:         184
        .size:           8
        .value_kind:     hidden_global_offset_y
      - .offset:         192
        .size:           8
        .value_kind:     hidden_global_offset_z
      - .offset:         200
        .size:           2
        .value_kind:     hidden_grid_dims
    .group_segment_fixed_size: 0
    .kernarg_segment_align: 8
    .kernarg_segment_size: 392
    .language:       OpenCL C
    .language_version:
      - 2
      - 0
    .max_flat_workgroup_size: 1024
    .name:           AmpAdamContiguous
    .private_segment_fixed_size: 0
    .sgpr_count:     64
    .sgpr_spill_count: 0
    .symbol:         AmpAdamContiguous.kd
    .uniform_work_group_size: 1
    .uses_dynamic_stack: false
    .vgpr_count:     53
    .vgpr_spill_count: 0
    .wavefront_size: 32
    .workgroup_processor_mode: 1
  - .args:
      - .address_space:  global
        .offset:         0
        .size:           8
        .value_kind:     global_buffer
      - .address_space:  global
        .offset:         8
        .size:           8
        .value_kind:     global_buffer
      - .address_space:  global
        .offset:         16
        .size:           8
        .value_kind:     global_buffer
      - .offset:         24
        .size:           4
        .value_kind:     hidden_block_count_x
      - .offset:         28
        .size:           4
        .value_kind:     hidden_block_count_y
      - .offset:         32
        .size:           4
        .value_kind:     hidden_block_count_z
      - .offset:         36
        .size:           2
        .value_kind:     hidden_group_size_x
      - .offset:         38
        .size:           2
        .value_kind:     hidden_group_size_y
      - .offset:         40
        .size:           2
        .value_kind:     hidden_group_size_z
      - .offset:         42
        .size:           2
        .value_kind:     hidden_remainder_x
      - .offset:         44
        .size:           2
        .value_kind:     hidden_remainder_y
      - .offset:         46
        .size:           2
        .value_kind:     hidden_remainder_z
      - .offset:         64
        .size:           8
        .value_kind:     hidden_global_offset_x
      - .offset:         72
        .size:           8
        .value_kind:     hidden_global_offset_y
      - .offset:         80
        .size:           8
        .value_kind:     hidden_global_offset_z
      - .offset:         88
        .size:           2
        .value_kind:     hidden_grid_dims
    .group_segment_fixed_size: 0
    .kernarg_segment_align: 8
    .kernarg_segment_size: 280
    .language:       OpenCL C
    .language_version:
      - 2
      - 0
    .max_flat_workgroup_size: 1024
    .name:           AdamUpdateStep
    .private_segment_fixed_size: 0
    .sgpr_count:     10
    .sgpr_spill_count: 0
    .symbol:         AdamUpdateStep.kd
    .uniform_work_group_size: 1
    .uses_dynamic_stack: false
    .vgpr_count:     2
    .vgpr_spill_count: 0
    .wavefront_size: 32
    .workgroup_processor_mode: 1
  - .args:
      - .address_space:  global
        .offset:         0
        .size:           8
        .value_kind:     global_buffer
      - .address_space:  global
        .offset:         8
        .size:           8
        .value_kind:     global_buffer
      - .address_space:  global
        .offset:         16
        .size:           8
        .value_kind:     global_buffer
      - .address_space:  global
        .offset:         24
        .size:           8
        .value_kind:     global_buffer
      - .address_space:  global
        .offset:         32
        .size:           8
        .value_kind:     global_buffer
      - .address_space:  global
        .offset:         40
        .size:           8
        .value_kind:     global_buffer
      - .address_space:  global
        .offset:         48
        .size:           8
        .value_kind:     global_buffer
      - .offset:         56
        .size:           4
        .value_kind:     by_value
      - .offset:         60
        .size:           4
        .value_kind:     by_value
      - .offset:         64
        .size:           4
        .value_kind:     by_value
      - .offset:         68
        .size:           4
        .value_kind:     by_value
      - .offset:         72
        .size:           4
        .value_kind:     by_value
      - .offset:         80
        .size:           8
        .value_kind:     by_value
      - .offset:         88
        .size:           4
        .value_kind:     hidden_block_count_x
      - .offset:         92
        .size:           4
        .value_kind:     hidden_block_count_y
      - .offset:         96
        .size:           4
        .value_kind:     hidden_block_count_z
      - .offset:         100
        .size:           2
        .value_kind:     hidden_group_size_x
      - .offset:         102
        .size:           2
        .value_kind:     hidden_group_size_y
      - .offset:         104
        .size:           2
        .value_kind:     hidden_group_size_z
      - .offset:         106
        .size:           2
        .value_kind:     hidden_remainder_x
      - .offset:         108
        .size:           2
        .value_kind:     hidden_remainder_y
      - .offset:         110
        .size:           2
        .value_kind:     hidden_remainder_z
      - .offset:         128
        .size:           8
        .value_kind:     hidden_global_offset_x
      - .offset:         136
        .size:           8
        .value_kind:     hidden_global_offset_y
      - .offset:         144
        .size:           8
        .value_kind:     hidden_global_offset_z
      - .offset:         152
        .size:           2
        .value_kind:     hidden_grid_dims
    .group_segment_fixed_size: 0
    .kernarg_segment_align: 8
    .kernarg_segment_size: 344
    .language:       OpenCL C
    .language_version:
      - 2
      - 0
    .max_flat_workgroup_size: 1024
    .name:           TransformersAdamWContiguous
    .private_segment_fixed_size: 0
    .sgpr_count:     30
    .sgpr_spill_count: 0
    .symbol:         TransformersAdamWContiguous.kd
    .uniform_work_group_size: 1
    .uses_dynamic_stack: false
    .vgpr_count:     22
    .vgpr_spill_count: 0
    .wavefront_size: 32
    .workgroup_processor_mode: 1
  - .args:
      - .address_space:  global
        .offset:         0
        .size:           8
        .value_kind:     global_buffer
      - .address_space:  global
        .offset:         8
        .size:           8
        .value_kind:     global_buffer
      - .address_space:  global
        .offset:         16
        .size:           8
        .value_kind:     global_buffer
      - .address_space:  global
        .offset:         24
        .size:           8
        .value_kind:     global_buffer
      - .address_space:  global
        .offset:         32
        .size:           8
        .value_kind:     global_buffer
      - .address_space:  global
        .offset:         40
        .size:           8
        .value_kind:     global_buffer
      - .address_space:  global
        .offset:         48
        .size:           8
        .value_kind:     global_buffer
      - .address_space:  global
        .offset:         56
        .size:           8
        .value_kind:     global_buffer
      - .address_space:  global
        .offset:         64
        .size:           8
        .value_kind:     global_buffer
      - .address_space:  global
        .offset:         72
        .size:           8
        .value_kind:     global_buffer
      - .offset:         80
        .size:           4
        .value_kind:     by_value
      - .offset:         84
        .size:           4
        .value_kind:     by_value
      - .offset:         88
        .size:           4
        .value_kind:     by_value
      - .offset:         92
        .size:           4
        .value_kind:     by_value
      - .offset:         96
        .size:           4
        .value_kind:     by_value
      - .offset:         104
        .size:           8
        .value_kind:     by_value
      - .offset:         112
        .size:           4
        .value_kind:     hidden_block_count_x
      - .offset:         116
        .size:           4
        .value_kind:     hidden_block_count_y
      - .offset:         120
        .size:           4
        .value_kind:     hidden_block_count_z
      - .offset:         124
        .size:           2
        .value_kind:     hidden_group_size_x
      - .offset:         126
        .size:           2
        .value_kind:     hidden_group_size_y
      - .offset:         128
        .size:           2
        .value_kind:     hidden_group_size_z
      - .offset:         130
        .size:           2
        .value_kind:     hidden_remainder_x
      - .offset:         132
        .size:           2
        .value_kind:     hidden_remainder_y
      - .offset:         134
        .size:           2
        .value_kind:     hidden_remainder_z
      - .offset:         152
        .size:           8
        .value_kind:     hidden_global_offset_x
      - .offset:         160
        .size:           8
        .value_kind:     hidden_global_offset_y
      - .offset:         168
        .size:           8
        .value_kind:     hidden_global_offset_z
      - .offset:         176
        .size:           2
        .value_kind:     hidden_grid_dims
    .group_segment_fixed_size: 0
    .kernarg_segment_align: 8
    .kernarg_segment_size: 368
    .language:       OpenCL C
    .language_version:
      - 2
      - 0
    .max_flat_workgroup_size: 1024
    .name:           TransformersAmpAdamWContiguous
    .private_segment_fixed_size: 0
    .sgpr_count:     33
    .sgpr_spill_count: 0
    .symbol:         TransformersAmpAdamWContiguous.kd
    .uniform_work_group_size: 1
    .uses_dynamic_stack: false
    .vgpr_count:     19
    .vgpr_spill_count: 0
    .wavefront_size: 32
    .workgroup_processor_mode: 1
  - .args:
      - .address_space:  global
        .offset:         0
        .size:           8
        .value_kind:     global_buffer
      - .address_space:  global
        .offset:         8
        .size:           8
        .value_kind:     global_buffer
      - .address_space:  global
        .offset:         16
        .size:           8
        .value_kind:     global_buffer
      - .address_space:  global
        .offset:         24
        .size:           8
        .value_kind:     global_buffer
      - .address_space:  global
        .offset:         32
        .size:           8
        .value_kind:     global_buffer
      - .address_space:  global
        .offset:         40
        .size:           8
        .value_kind:     global_buffer
      - .address_space:  global
        .offset:         48
        .size:           8
        .value_kind:     global_buffer
      - .address_space:  global
        .offset:         56
        .size:           8
        .value_kind:     global_buffer
      - .address_space:  global
        .offset:         64
        .size:           8
        .value_kind:     global_buffer
      - .address_space:  global
        .offset:         72
        .size:           8
        .value_kind:     global_buffer
      - .address_space:  global
        .offset:         80
        .size:           8
        .value_kind:     global_buffer
      - .offset:         88
        .size:           4
        .value_kind:     by_value
      - .offset:         92
        .size:           4
        .value_kind:     by_value
      - .offset:         96
        .size:           4
        .value_kind:     by_value
      - .offset:         100
        .size:           4
        .value_kind:     by_value
      - .offset:         104
        .size:           4
        .value_kind:     by_value
      - .offset:         108
        .size:           4
        .value_kind:     by_value
      - .offset:         112
        .size:           1
        .value_kind:     by_value
      - .offset:         120
        .size:           8
        .value_kind:     by_value
      - .offset:         128
        .size:           4
        .value_kind:     hidden_block_count_x
      - .offset:         132
        .size:           4
        .value_kind:     hidden_block_count_y
      - .offset:         136
        .size:           4
        .value_kind:     hidden_block_count_z
      - .offset:         140
        .size:           2
        .value_kind:     hidden_group_size_x
      - .offset:         142
        .size:           2
        .value_kind:     hidden_group_size_y
      - .offset:         144
        .size:           2
        .value_kind:     hidden_group_size_z
      - .offset:         146
        .size:           2
        .value_kind:     hidden_remainder_x
      - .offset:         148
        .size:           2
        .value_kind:     hidden_remainder_y
      - .offset:         150
        .size:           2
        .value_kind:     hidden_remainder_z
      - .offset:         168
        .size:           8
        .value_kind:     hidden_global_offset_x
      - .offset:         176
        .size:           8
        .value_kind:     hidden_global_offset_y
      - .offset:         184
        .size:           8
        .value_kind:     hidden_global_offset_z
      - .offset:         192
        .size:           2
        .value_kind:     hidden_grid_dims
    .group_segment_fixed_size: 0
    .kernarg_segment_align: 8
    .kernarg_segment_size: 384
    .language:       OpenCL C
    .language_version:
      - 2
      - 0
    .max_flat_workgroup_size: 1024
    .name:           TransformersAmpAdamWContiguousWithStep
    .private_segment_fixed_size: 0
    .sgpr_count:     48
    .sgpr_spill_count: 0
    .symbol:         TransformersAmpAdamWContiguousWithStep.kd
    .uniform_work_group_size: 1
    .uses_dynamic_stack: false
    .vgpr_count:     49
    .vgpr_spill_count: 0
    .wavefront_size: 32
    .workgroup_processor_mode: 1
amdhsa.target:   amdgcn-amd-amdhsa--gfx1030
amdhsa.version:
  - 1
  - 2
...

	.end_amdgpu_metadata
